;; amdgpu-corpus repo=ROCm/rocFFT kind=compiled arch=gfx1201 opt=O3
	.text
	.amdgcn_target "amdgcn-amd-amdhsa--gfx1201"
	.amdhsa_code_object_version 6
	.protected	fft_rtc_back_len1872_factors_13_3_4_6_2_wgs_156_tpt_156_halfLds_sp_op_CI_CI_sbrr_dirReg ; -- Begin function fft_rtc_back_len1872_factors_13_3_4_6_2_wgs_156_tpt_156_halfLds_sp_op_CI_CI_sbrr_dirReg
	.globl	fft_rtc_back_len1872_factors_13_3_4_6_2_wgs_156_tpt_156_halfLds_sp_op_CI_CI_sbrr_dirReg
	.p2align	8
	.type	fft_rtc_back_len1872_factors_13_3_4_6_2_wgs_156_tpt_156_halfLds_sp_op_CI_CI_sbrr_dirReg,@function
fft_rtc_back_len1872_factors_13_3_4_6_2_wgs_156_tpt_156_halfLds_sp_op_CI_CI_sbrr_dirReg: ; @fft_rtc_back_len1872_factors_13_3_4_6_2_wgs_156_tpt_156_halfLds_sp_op_CI_CI_sbrr_dirReg
; %bb.0:
	s_clause 0x2
	s_load_b128 s[12:15], s[0:1], 0x18
	s_load_b128 s[8:11], s[0:1], 0x0
	;; [unrolled: 1-line block ×3, first 2 shown]
	v_mul_u32_u24_e32 v1, 0x1a5, v0
	v_mov_b32_e32 v3, 0
	v_mov_b32_e32 v9, 0
	;; [unrolled: 1-line block ×3, first 2 shown]
	s_wait_kmcnt 0x0
	s_load_b64 s[18:19], s[12:13], 0x0
	s_load_b64 s[16:17], s[14:15], 0x0
	v_lshrrev_b32_e32 v1, 16, v1
	v_cmp_lt_u64_e64 s2, s[10:11], 2
	s_delay_alu instid0(VALU_DEP_2) | instskip(NEXT) | instid1(VALU_DEP_2)
	v_dual_mov_b32 v8, v3 :: v_dual_add_nc_u32 v7, ttmp9, v1
	s_and_b32 vcc_lo, exec_lo, s2
	s_cbranch_vccnz .LBB0_8
; %bb.1:
	s_load_b64 s[2:3], s[0:1], 0x10
	v_mov_b32_e32 v9, 0
	v_mov_b32_e32 v10, 0
	s_delay_alu instid0(VALU_DEP_2)
	v_mov_b32_e32 v1, v9
	s_add_nc_u64 s[20:21], s[14:15], 8
	s_add_nc_u64 s[22:23], s[12:13], 8
	s_mov_b64 s[24:25], 1
	v_mov_b32_e32 v2, v10
	s_wait_kmcnt 0x0
	s_add_nc_u64 s[26:27], s[2:3], 8
	s_mov_b32 s3, 0
.LBB0_2:                                ; =>This Inner Loop Header: Depth=1
	s_load_b64 s[28:29], s[26:27], 0x0
                                        ; implicit-def: $vgpr5_vgpr6
	s_mov_b32 s2, exec_lo
	s_wait_kmcnt 0x0
	v_or_b32_e32 v4, s29, v8
	s_delay_alu instid0(VALU_DEP_1)
	v_cmpx_ne_u64_e32 0, v[3:4]
	s_wait_alu 0xfffe
	s_xor_b32 s30, exec_lo, s2
	s_cbranch_execz .LBB0_4
; %bb.3:                                ;   in Loop: Header=BB0_2 Depth=1
	s_cvt_f32_u32 s2, s28
	s_cvt_f32_u32 s31, s29
	s_sub_nc_u64 s[36:37], 0, s[28:29]
	s_wait_alu 0xfffe
	s_delay_alu instid0(SALU_CYCLE_1) | instskip(SKIP_1) | instid1(SALU_CYCLE_2)
	s_fmamk_f32 s2, s31, 0x4f800000, s2
	s_wait_alu 0xfffe
	v_s_rcp_f32 s2, s2
	s_delay_alu instid0(TRANS32_DEP_1) | instskip(SKIP_1) | instid1(SALU_CYCLE_2)
	s_mul_f32 s2, s2, 0x5f7ffffc
	s_wait_alu 0xfffe
	s_mul_f32 s31, s2, 0x2f800000
	s_wait_alu 0xfffe
	s_delay_alu instid0(SALU_CYCLE_2) | instskip(SKIP_1) | instid1(SALU_CYCLE_2)
	s_trunc_f32 s31, s31
	s_wait_alu 0xfffe
	s_fmamk_f32 s2, s31, 0xcf800000, s2
	s_cvt_u32_f32 s35, s31
	s_wait_alu 0xfffe
	s_delay_alu instid0(SALU_CYCLE_1) | instskip(SKIP_1) | instid1(SALU_CYCLE_2)
	s_cvt_u32_f32 s34, s2
	s_wait_alu 0xfffe
	s_mul_u64 s[38:39], s[36:37], s[34:35]
	s_wait_alu 0xfffe
	s_mul_hi_u32 s41, s34, s39
	s_mul_i32 s40, s34, s39
	s_mul_hi_u32 s2, s34, s38
	s_mul_i32 s33, s35, s38
	s_wait_alu 0xfffe
	s_add_nc_u64 s[40:41], s[2:3], s[40:41]
	s_mul_hi_u32 s31, s35, s38
	s_mul_hi_u32 s42, s35, s39
	s_add_co_u32 s2, s40, s33
	s_wait_alu 0xfffe
	s_add_co_ci_u32 s2, s41, s31
	s_mul_i32 s38, s35, s39
	s_add_co_ci_u32 s39, s42, 0
	s_wait_alu 0xfffe
	s_add_nc_u64 s[38:39], s[2:3], s[38:39]
	s_wait_alu 0xfffe
	v_add_co_u32 v4, s2, s34, s38
	s_delay_alu instid0(VALU_DEP_1) | instskip(SKIP_1) | instid1(VALU_DEP_1)
	s_cmp_lg_u32 s2, 0
	s_add_co_ci_u32 s35, s35, s39
	v_readfirstlane_b32 s34, v4
	s_wait_alu 0xfffe
	s_delay_alu instid0(VALU_DEP_1)
	s_mul_u64 s[36:37], s[36:37], s[34:35]
	s_wait_alu 0xfffe
	s_mul_hi_u32 s39, s34, s37
	s_mul_i32 s38, s34, s37
	s_mul_hi_u32 s2, s34, s36
	s_mul_i32 s33, s35, s36
	s_wait_alu 0xfffe
	s_add_nc_u64 s[38:39], s[2:3], s[38:39]
	s_mul_hi_u32 s31, s35, s36
	s_mul_hi_u32 s34, s35, s37
	s_wait_alu 0xfffe
	s_add_co_u32 s2, s38, s33
	s_add_co_ci_u32 s2, s39, s31
	s_mul_i32 s36, s35, s37
	s_add_co_ci_u32 s37, s34, 0
	s_wait_alu 0xfffe
	s_add_nc_u64 s[36:37], s[2:3], s[36:37]
	s_wait_alu 0xfffe
	v_add_co_u32 v6, s2, v4, s36
	s_delay_alu instid0(VALU_DEP_1) | instskip(SKIP_1) | instid1(VALU_DEP_1)
	s_cmp_lg_u32 s2, 0
	s_add_co_ci_u32 s2, s35, s37
	v_mul_hi_u32 v15, v7, v6
	s_wait_alu 0xfffe
	v_mad_co_u64_u32 v[4:5], null, v7, s2, 0
	v_mad_co_u64_u32 v[11:12], null, v8, v6, 0
	;; [unrolled: 1-line block ×3, first 2 shown]
	s_delay_alu instid0(VALU_DEP_3) | instskip(SKIP_1) | instid1(VALU_DEP_4)
	v_add_co_u32 v4, vcc_lo, v15, v4
	s_wait_alu 0xfffd
	v_add_co_ci_u32_e32 v5, vcc_lo, 0, v5, vcc_lo
	s_delay_alu instid0(VALU_DEP_2) | instskip(SKIP_1) | instid1(VALU_DEP_2)
	v_add_co_u32 v4, vcc_lo, v4, v11
	s_wait_alu 0xfffd
	v_add_co_ci_u32_e32 v4, vcc_lo, v5, v12, vcc_lo
	s_wait_alu 0xfffd
	v_add_co_ci_u32_e32 v5, vcc_lo, 0, v14, vcc_lo
	s_delay_alu instid0(VALU_DEP_2) | instskip(SKIP_1) | instid1(VALU_DEP_2)
	v_add_co_u32 v11, vcc_lo, v4, v13
	s_wait_alu 0xfffd
	v_add_co_ci_u32_e32 v6, vcc_lo, 0, v5, vcc_lo
	s_delay_alu instid0(VALU_DEP_2) | instskip(SKIP_1) | instid1(VALU_DEP_3)
	v_mul_lo_u32 v12, s29, v11
	v_mad_co_u64_u32 v[4:5], null, s28, v11, 0
	v_mul_lo_u32 v13, s28, v6
	s_delay_alu instid0(VALU_DEP_2) | instskip(NEXT) | instid1(VALU_DEP_2)
	v_sub_co_u32 v4, vcc_lo, v7, v4
	v_add3_u32 v5, v5, v13, v12
	s_delay_alu instid0(VALU_DEP_1) | instskip(SKIP_1) | instid1(VALU_DEP_1)
	v_sub_nc_u32_e32 v12, v8, v5
	s_wait_alu 0xfffd
	v_subrev_co_ci_u32_e64 v12, s2, s29, v12, vcc_lo
	v_add_co_u32 v13, s2, v11, 2
	s_wait_alu 0xf1ff
	v_add_co_ci_u32_e64 v14, s2, 0, v6, s2
	v_sub_co_u32 v15, s2, v4, s28
	v_sub_co_ci_u32_e32 v5, vcc_lo, v8, v5, vcc_lo
	s_wait_alu 0xf1ff
	v_subrev_co_ci_u32_e64 v12, s2, 0, v12, s2
	s_delay_alu instid0(VALU_DEP_3) | instskip(NEXT) | instid1(VALU_DEP_3)
	v_cmp_le_u32_e32 vcc_lo, s28, v15
	v_cmp_eq_u32_e64 s2, s29, v5
	s_wait_alu 0xfffd
	v_cndmask_b32_e64 v15, 0, -1, vcc_lo
	v_cmp_le_u32_e32 vcc_lo, s29, v12
	s_wait_alu 0xfffd
	v_cndmask_b32_e64 v16, 0, -1, vcc_lo
	v_cmp_le_u32_e32 vcc_lo, s28, v4
	;; [unrolled: 3-line block ×3, first 2 shown]
	s_wait_alu 0xfffd
	v_cndmask_b32_e64 v17, 0, -1, vcc_lo
	v_cmp_eq_u32_e32 vcc_lo, s29, v12
	s_wait_alu 0xf1ff
	s_delay_alu instid0(VALU_DEP_2)
	v_cndmask_b32_e64 v4, v17, v4, s2
	s_wait_alu 0xfffd
	v_cndmask_b32_e32 v12, v16, v15, vcc_lo
	v_add_co_u32 v15, vcc_lo, v11, 1
	s_wait_alu 0xfffd
	v_add_co_ci_u32_e32 v16, vcc_lo, 0, v6, vcc_lo
	s_delay_alu instid0(VALU_DEP_3) | instskip(SKIP_1) | instid1(VALU_DEP_2)
	v_cmp_ne_u32_e32 vcc_lo, 0, v12
	s_wait_alu 0xfffd
	v_dual_cndmask_b32 v5, v16, v14 :: v_dual_cndmask_b32 v12, v15, v13
	v_cmp_ne_u32_e32 vcc_lo, 0, v4
	s_wait_alu 0xfffd
	s_delay_alu instid0(VALU_DEP_2)
	v_dual_cndmask_b32 v6, v6, v5 :: v_dual_cndmask_b32 v5, v11, v12
.LBB0_4:                                ;   in Loop: Header=BB0_2 Depth=1
	s_wait_alu 0xfffe
	s_and_not1_saveexec_b32 s2, s30
	s_cbranch_execz .LBB0_6
; %bb.5:                                ;   in Loop: Header=BB0_2 Depth=1
	v_cvt_f32_u32_e32 v4, s28
	s_sub_co_i32 s30, 0, s28
	s_delay_alu instid0(VALU_DEP_1) | instskip(NEXT) | instid1(TRANS32_DEP_1)
	v_rcp_iflag_f32_e32 v4, v4
	v_mul_f32_e32 v4, 0x4f7ffffe, v4
	s_delay_alu instid0(VALU_DEP_1) | instskip(SKIP_1) | instid1(VALU_DEP_1)
	v_cvt_u32_f32_e32 v4, v4
	s_wait_alu 0xfffe
	v_mul_lo_u32 v5, s30, v4
	s_delay_alu instid0(VALU_DEP_1) | instskip(NEXT) | instid1(VALU_DEP_1)
	v_mul_hi_u32 v5, v4, v5
	v_add_nc_u32_e32 v4, v4, v5
	s_delay_alu instid0(VALU_DEP_1) | instskip(NEXT) | instid1(VALU_DEP_1)
	v_mul_hi_u32 v4, v7, v4
	v_mul_lo_u32 v5, v4, s28
	v_add_nc_u32_e32 v6, 1, v4
	s_delay_alu instid0(VALU_DEP_2) | instskip(NEXT) | instid1(VALU_DEP_1)
	v_sub_nc_u32_e32 v5, v7, v5
	v_subrev_nc_u32_e32 v11, s28, v5
	v_cmp_le_u32_e32 vcc_lo, s28, v5
	s_wait_alu 0xfffd
	s_delay_alu instid0(VALU_DEP_2) | instskip(NEXT) | instid1(VALU_DEP_1)
	v_dual_cndmask_b32 v5, v5, v11 :: v_dual_cndmask_b32 v4, v4, v6
	v_cmp_le_u32_e32 vcc_lo, s28, v5
	s_delay_alu instid0(VALU_DEP_2) | instskip(SKIP_1) | instid1(VALU_DEP_1)
	v_add_nc_u32_e32 v6, 1, v4
	s_wait_alu 0xfffd
	v_dual_cndmask_b32 v5, v4, v6 :: v_dual_mov_b32 v6, v3
.LBB0_6:                                ;   in Loop: Header=BB0_2 Depth=1
	s_wait_alu 0xfffe
	s_or_b32 exec_lo, exec_lo, s2
	s_delay_alu instid0(VALU_DEP_1) | instskip(NEXT) | instid1(VALU_DEP_2)
	v_mul_lo_u32 v4, v6, s28
	v_mul_lo_u32 v13, v5, s29
	s_load_b64 s[30:31], s[22:23], 0x0
	v_mad_co_u64_u32 v[11:12], null, v5, s28, 0
	s_load_b64 s[28:29], s[20:21], 0x0
	s_add_nc_u64 s[24:25], s[24:25], 1
	s_add_nc_u64 s[20:21], s[20:21], 8
	s_wait_alu 0xfffe
	v_cmp_ge_u64_e64 s2, s[24:25], s[10:11]
	s_add_nc_u64 s[22:23], s[22:23], 8
	s_add_nc_u64 s[26:27], s[26:27], 8
	v_add3_u32 v4, v12, v13, v4
	v_sub_co_u32 v7, vcc_lo, v7, v11
	s_wait_alu 0xfffd
	s_delay_alu instid0(VALU_DEP_2) | instskip(SKIP_2) | instid1(VALU_DEP_1)
	v_sub_co_ci_u32_e32 v4, vcc_lo, v8, v4, vcc_lo
	s_and_b32 vcc_lo, exec_lo, s2
	s_wait_kmcnt 0x0
	v_mul_lo_u32 v8, s30, v4
	v_mul_lo_u32 v11, s31, v7
	v_mad_co_u64_u32 v[9:10], null, s30, v7, v[9:10]
	v_mul_lo_u32 v4, s28, v4
	v_mul_lo_u32 v12, s29, v7
	v_mad_co_u64_u32 v[1:2], null, s28, v7, v[1:2]
	s_delay_alu instid0(VALU_DEP_4) | instskip(NEXT) | instid1(VALU_DEP_2)
	v_add3_u32 v10, v11, v10, v8
	v_add3_u32 v2, v12, v2, v4
	s_wait_alu 0xfffe
	s_cbranch_vccnz .LBB0_9
; %bb.7:                                ;   in Loop: Header=BB0_2 Depth=1
	v_dual_mov_b32 v8, v6 :: v_dual_mov_b32 v7, v5
	s_branch .LBB0_2
.LBB0_8:
	v_dual_mov_b32 v1, v9 :: v_dual_mov_b32 v2, v10
	s_delay_alu instid0(VALU_DEP_2)
	v_dual_mov_b32 v5, v7 :: v_dual_mov_b32 v6, v8
.LBB0_9:
	s_load_b64 s[0:1], s[0:1], 0x28
	v_mul_hi_u32 v3, 0x1a41a42, v0
	v_dual_mov_b32 v30, 0 :: v_dual_mov_b32 v29, 0
	s_lshl_b64 s[2:3], s[10:11], 3
                                        ; implicit-def: $vgpr38
                                        ; implicit-def: $vgpr36
                                        ; implicit-def: $vgpr18
                                        ; implicit-def: $vgpr32
                                        ; implicit-def: $vgpr16
                                        ; implicit-def: $vgpr8
                                        ; implicit-def: $vgpr28
                                        ; implicit-def: $vgpr34
                                        ; implicit-def: $vgpr40
                                        ; implicit-def: $vgpr42
                                        ; implicit-def: $vgpr44
                                        ; implicit-def: $vgpr14
	s_delay_alu instid0(VALU_DEP_2) | instskip(NEXT) | instid1(VALU_DEP_1)
	v_mul_u32_u24_e32 v3, 0x9c, v3
	v_sub_nc_u32_e32 v3, v0, v3
	s_wait_kmcnt 0x0
	v_cmp_gt_u64_e32 vcc_lo, s[0:1], v[5:6]
	s_delay_alu instid0(VALU_DEP_2) | instskip(NEXT) | instid1(VALU_DEP_1)
	v_cmp_gt_u32_e64 s0, 0x90, v3
	s_and_b32 s1, vcc_lo, s0
	s_wait_alu 0xfffe
	s_and_saveexec_b32 s10, s1
	s_cbranch_execz .LBB0_11
; %bb.10:
	s_add_nc_u64 s[12:13], s[12:13], s[2:3]
	v_mad_co_u64_u32 v[7:8], null, s18, v3, 0
	s_load_b64 s[12:13], s[12:13], 0x0
	v_add_nc_u32_e32 v22, 0x90, v3
	v_add_nc_u32_e32 v25, 0x1b0, v3
	;; [unrolled: 1-line block ×4, first 2 shown]
	v_lshlrev_b64_e32 v[9:10], 3, v[9:10]
	v_mov_b32_e32 v0, v8
	v_mad_co_u64_u32 v[11:12], null, s18, v22, 0
	v_mad_co_u64_u32 v[15:16], null, s18, v25, 0
	;; [unrolled: 1-line block ×3, first 2 shown]
	s_delay_alu instid0(VALU_DEP_4) | instskip(NEXT) | instid1(VALU_DEP_4)
	v_mad_co_u64_u32 v[19:20], null, s19, v3, v[0:1]
	v_mov_b32_e32 v0, v12
	v_mad_co_u64_u32 v[20:21], null, s18, v26, 0
	v_mov_b32_e32 v12, v16
	v_mov_b32_e32 v4, v14
	s_wait_kmcnt 0x0
	v_mul_lo_u32 v8, s13, v5
	v_mul_lo_u32 v23, s12, v6
	v_mad_co_u64_u32 v[17:18], null, s12, v5, 0
	v_add_nc_u32_e32 v42, 0x6c0, v3
	v_add_nc_u32_e32 v31, 0x5a0, v3
	;; [unrolled: 1-line block ×3, first 2 shown]
	s_delay_alu instid0(VALU_DEP_3) | instskip(SKIP_3) | instid1(VALU_DEP_3)
	v_mad_co_u64_u32 v[39:40], null, s18, v42, 0
	v_add3_u32 v18, v18, v23, v8
	v_mad_co_u64_u32 v[22:23], null, s19, v22, v[0:1]
	v_mov_b32_e32 v8, v19
	v_lshlrev_b64_e32 v[16:17], 3, v[17:18]
	v_mad_co_u64_u32 v[18:19], null, s19, v25, v[12:13]
	v_add_nc_u32_e32 v25, 0x510, v3
	v_add_nc_u32_e32 v19, 0x360, v3
	v_mad_co_u64_u32 v[23:24], null, s19, v24, v[4:5]
	v_add_co_u32 v0, s1, s4, v16
	s_wait_alu 0xf1ff
	v_add_co_ci_u32_e64 v4, s1, s5, v17, s1
	v_mov_b32_e32 v12, v22
	s_delay_alu instid0(VALU_DEP_3)
	v_add_co_u32 v28, s1, v0, v9
	v_mov_b32_e32 v14, v23
	v_mov_b32_e32 v16, v18
	v_dual_mov_b32 v0, v21 :: v_dual_add_nc_u32 v17, 0x2d0, v3
	s_wait_alu 0xf1ff
	v_add_co_ci_u32_e64 v4, s1, v4, v10, s1
	v_lshlrev_b64_e32 v[9:10], 3, v[11:12]
	v_lshlrev_b64_e32 v[11:12], 3, v[13:14]
	;; [unrolled: 1-line block ×3, first 2 shown]
	v_mad_co_u64_u32 v[15:16], null, s19, v26, v[0:1]
	v_mad_co_u64_u32 v[22:23], null, s18, v17, 0
	v_lshlrev_b64_e32 v[7:8], 3, v[7:8]
	s_delay_alu instid0(VALU_DEP_3) | instskip(SKIP_1) | instid1(VALU_DEP_3)
	v_mov_b32_e32 v21, v15
	v_mad_co_u64_u32 v[15:16], null, s18, v19, 0
	v_add_co_u32 v7, s1, v28, v7
	v_mov_b32_e32 v0, v23
	s_wait_alu 0xf1ff
	v_add_co_ci_u32_e64 v8, s1, v4, v8, s1
	v_add_co_u32 v9, s1, v28, v9
	s_wait_alu 0xf1ff
	v_add_co_ci_u32_e64 v10, s1, v4, v10, s1
	v_add_co_u32 v11, s1, v28, v11
	v_mad_co_u64_u32 v[23:24], null, s19, v17, v[0:1]
	s_wait_alu 0xf1ff
	v_add_co_ci_u32_e64 v12, s1, v4, v12, s1
	v_mov_b32_e32 v0, v16
	v_add_co_u32 v13, s1, v28, v13
	v_add_nc_u32_e32 v24, 0x3f0, v3
	s_wait_alu 0xf1ff
	v_add_co_ci_u32_e64 v14, s1, v4, v14, s1
	s_clause 0x3
	global_load_b64 v[29:30], v[7:8], off
	global_load_b64 v[37:38], v[9:10], off
	;; [unrolled: 1-line block ×4, first 2 shown]
	v_mad_co_u64_u32 v[11:12], null, s19, v19, v[0:1]
	v_mad_co_u64_u32 v[9:10], null, s18, v24, 0
	v_lshlrev_b64_e32 v[12:13], 3, v[22:23]
	v_add_nc_u32_e32 v23, 0x480, v3
	v_lshlrev_b64_e32 v[7:8], 3, v[20:21]
	v_mad_co_u64_u32 v[21:22], null, s18, v25, 0
	v_mov_b32_e32 v16, v11
	s_delay_alu instid0(VALU_DEP_4) | instskip(SKIP_4) | instid1(VALU_DEP_3)
	v_mad_co_u64_u32 v[19:20], null, s18, v23, 0
	v_mov_b32_e32 v0, v10
	v_add_co_u32 v7, s1, v28, v7
	s_wait_alu 0xf1ff
	v_add_co_ci_u32_e64 v8, s1, v4, v8, s1
	v_mad_co_u64_u32 v[10:11], null, s19, v24, v[0:1]
	v_mov_b32_e32 v0, v20
	v_add_co_u32 v11, s1, v28, v12
	s_wait_alu 0xf1ff
	v_add_co_ci_u32_e64 v12, s1, v4, v13, s1
	v_lshlrev_b64_e32 v[13:14], 3, v[15:16]
	v_mad_co_u64_u32 v[15:16], null, s19, v23, v[0:1]
	v_mov_b32_e32 v0, v22
	v_mad_co_u64_u32 v[23:24], null, s18, v31, 0
	v_lshlrev_b64_e32 v[9:10], 3, v[9:10]
	v_add_co_u32 v13, s1, v28, v13
	s_delay_alu instid0(VALU_DEP_4)
	v_mad_co_u64_u32 v[25:26], null, s19, v25, v[0:1]
	v_mad_co_u64_u32 v[26:27], null, s18, v41, 0
	v_mov_b32_e32 v0, v24
	s_wait_alu 0xf1ff
	v_add_co_ci_u32_e64 v14, s1, v4, v14, s1
	v_add_co_u32 v9, s1, v28, v9
	s_delay_alu instid0(VALU_DEP_3)
	v_mad_co_u64_u32 v[33:34], null, s19, v31, v[0:1]
	v_mov_b32_e32 v0, v27
	s_wait_alu 0xf1ff
	v_add_co_ci_u32_e64 v10, s1, v4, v10, s1
	v_mov_b32_e32 v20, v15
	s_clause 0x3
	global_load_b64 v[31:32], v[7:8], off
	global_load_b64 v[15:16], v[11:12], off
	global_load_b64 v[7:8], v[13:14], off
	global_load_b64 v[13:14], v[9:10], off
	v_mov_b32_e32 v22, v25
	v_mad_co_u64_u32 v[11:12], null, s19, v41, v[0:1]
	v_mov_b32_e32 v0, v40
	v_lshlrev_b64_e32 v[9:10], 3, v[19:20]
	v_mov_b32_e32 v24, v33
	v_lshlrev_b64_e32 v[19:20], 3, v[21:22]
	s_delay_alu instid0(VALU_DEP_4) | instskip(NEXT) | instid1(VALU_DEP_4)
	v_mad_co_u64_u32 v[21:22], null, s19, v42, v[0:1]
	v_add_co_u32 v9, s1, v28, v9
	s_delay_alu instid0(VALU_DEP_4)
	v_lshlrev_b64_e32 v[22:23], 3, v[23:24]
	v_mov_b32_e32 v27, v11
	s_wait_alu 0xf1ff
	v_add_co_ci_u32_e64 v10, s1, v4, v10, s1
	v_add_co_u32 v11, s1, v28, v19
	v_mov_b32_e32 v40, v21
	s_wait_alu 0xf1ff
	v_add_co_ci_u32_e64 v12, s1, v4, v20, s1
	v_lshlrev_b64_e32 v[19:20], 3, v[26:27]
	v_add_co_u32 v21, s1, v28, v22
	s_wait_alu 0xf1ff
	v_add_co_ci_u32_e64 v22, s1, v4, v23, s1
	v_lshlrev_b64_e32 v[23:24], 3, v[39:40]
	s_delay_alu instid0(VALU_DEP_4) | instskip(SKIP_2) | instid1(VALU_DEP_3)
	v_add_co_u32 v19, s1, v28, v19
	s_wait_alu 0xf1ff
	v_add_co_ci_u32_e64 v20, s1, v4, v20, s1
	v_add_co_u32 v23, s1, v28, v23
	s_wait_alu 0xf1ff
	v_add_co_ci_u32_e64 v24, s1, v4, v24, s1
	s_clause 0x4
	global_load_b64 v[27:28], v[9:10], off
	global_load_b64 v[33:34], v[11:12], off
	;; [unrolled: 1-line block ×5, first 2 shown]
.LBB0_11:
	s_wait_alu 0xfffe
	s_or_b32 exec_lo, exec_lo, s10
	s_and_saveexec_b32 s1, s0
	s_cbranch_execz .LBB0_13
; %bb.12:
	s_wait_loadcnt 0x0
	v_dual_add_f32 v0, v37, v41 :: v_dual_add_f32 v9, v35, v43
	v_dual_sub_f32 v4, v38, v42 :: v_dual_add_f32 v11, v17, v39
	v_dual_sub_f32 v19, v18, v40 :: v_dual_add_f32 v20, v31, v33
	s_delay_alu instid0(VALU_DEP_3) | instskip(NEXT) | instid1(VALU_DEP_4)
	v_dual_mul_f32 v12, 0xbf788fa5, v0 :: v_dual_sub_f32 v21, v32, v34
	v_dual_mul_f32 v22, 0x3f62ad3f, v9 :: v_dual_sub_f32 v25, v16, v28
	s_delay_alu instid0(VALU_DEP_2) | instskip(SKIP_2) | instid1(VALU_DEP_3)
	v_dual_add_f32 v24, v15, v27 :: v_dual_fmamk_f32 v23, v4, 0x3e750f2a, v12
	v_sub_f32_e32 v10, v36, v44
	v_dual_mul_f32 v26, 0xbf3f9e67, v11 :: v_dual_sub_f32 v47, v8, v14
	v_dual_add_f32 v46, v7, v13 :: v_dual_add_f32 v23, v29, v23
	s_delay_alu instid0(VALU_DEP_3) | instskip(SKIP_3) | instid1(VALU_DEP_4)
	v_fmamk_f32 v45, v10, 0xbeedf032, v22
	v_mul_f32_e32 v48, 0x3f116cb1, v20
	v_mul_f32_e32 v52, 0x3df6dbef, v9
	;; [unrolled: 1-line block ×3, first 2 shown]
	v_dual_mul_f32 v58, 0xbf788fa5, v11 :: v_dual_add_f32 v23, v23, v45
	v_fmac_f32_e32 v12, 0xbe750f2a, v4
	v_fmamk_f32 v49, v19, 0x3f29c268, v26
	v_dual_mul_f32 v60, 0x3f62ad3f, v46 :: v_dual_mul_f32 v55, 0x3f62ad3f, v11
	s_delay_alu instid0(VALU_DEP_3) | instskip(NEXT) | instid1(VALU_DEP_3)
	v_add_f32_e32 v12, v29, v12
	v_dual_add_f32 v23, v49, v23 :: v_dual_fmac_f32 v22, 0x3eedf032, v10
	v_mul_f32_e32 v45, 0xbeb58ec6, v24
	v_mul_f32_e32 v49, 0xbf3f9e67, v0
	v_fmac_f32_e32 v26, 0xbf29c268, v19
	s_delay_alu instid0(VALU_DEP_3) | instskip(NEXT) | instid1(VALU_DEP_1)
	v_dual_add_f32 v12, v12, v22 :: v_dual_fmamk_f32 v51, v25, 0x3f6f5d39, v45
	v_add_f32_e32 v12, v26, v12
	v_fmamk_f32 v50, v21, 0xbf52af12, v48
	s_delay_alu instid0(VALU_DEP_1) | instskip(NEXT) | instid1(VALU_DEP_1)
	v_dual_add_f32 v23, v50, v23 :: v_dual_fmamk_f32 v50, v4, 0x3f29c268, v49
	v_dual_add_f32 v23, v51, v23 :: v_dual_add_f32 v26, v29, v50
	v_fmac_f32_e32 v49, 0xbf29c268, v4
	v_fmamk_f32 v50, v10, 0xbf7e222b, v52
	v_fmac_f32_e32 v52, 0x3f7e222b, v10
	s_delay_alu instid0(VALU_DEP_3) | instskip(NEXT) | instid1(VALU_DEP_1)
	v_dual_mul_f32 v22, 0x3df6dbef, v46 :: v_dual_add_f32 v49, v29, v49
	v_dual_fmac_f32 v48, 0x3f52af12, v21 :: v_dual_add_f32 v49, v49, v52
	s_delay_alu instid0(VALU_DEP_1) | instskip(NEXT) | instid1(VALU_DEP_1)
	v_dual_mul_f32 v51, 0x3f116cb1, v11 :: v_dual_add_f32 v12, v48, v12
	v_fmamk_f32 v48, v19, 0x3f52af12, v51
	v_fmac_f32_e32 v51, 0xbf52af12, v19
	s_delay_alu instid0(VALU_DEP_1) | instskip(SKIP_2) | instid1(VALU_DEP_2)
	v_add_f32_e32 v49, v51, v49
	v_dual_fmamk_f32 v53, v47, 0xbf7e222b, v22 :: v_dual_add_f32 v26, v26, v50
	v_fmac_f32_e32 v45, 0xbf6f5d39, v25
	v_dual_mul_f32 v50, 0xbf788fa5, v20 :: v_dual_add_f32 v23, v53, v23
	s_delay_alu instid0(VALU_DEP_3) | instskip(NEXT) | instid1(VALU_DEP_3)
	v_add_f32_e32 v26, v48, v26
	v_add_f32_e32 v12, v45, v12
	v_mul_f32_e32 v48, 0x3f62ad3f, v24
	v_fmac_f32_e32 v22, 0x3f7e222b, v47
	v_fmamk_f32 v45, v21, 0xbe750f2a, v50
	v_fmac_f32_e32 v50, 0x3e750f2a, v21
	s_delay_alu instid0(VALU_DEP_2) | instskip(SKIP_1) | instid1(VALU_DEP_3)
	v_dual_mul_f32 v53, 0xbf3f9e67, v9 :: v_dual_add_f32 v26, v45, v26
	v_fmamk_f32 v45, v25, 0xbeedf032, v48
	v_add_f32_e32 v49, v50, v49
	v_fmac_f32_e32 v48, 0x3eedf032, v25
	s_delay_alu instid0(VALU_DEP_4) | instskip(NEXT) | instid1(VALU_DEP_4)
	v_fmamk_f32 v54, v10, 0xbf29c268, v53
	v_add_f32_e32 v26, v45, v26
	s_delay_alu instid0(VALU_DEP_3) | instskip(NEXT) | instid1(VALU_DEP_1)
	v_dual_mul_f32 v45, 0xbeb58ec6, v46 :: v_dual_add_f32 v48, v48, v49
	v_fmamk_f32 v51, v47, 0x3f6f5d39, v45
	v_fmac_f32_e32 v45, 0xbf6f5d39, v47
	s_delay_alu instid0(VALU_DEP_1) | instskip(SKIP_2) | instid1(VALU_DEP_1)
	v_add_f32_e32 v45, v45, v48
	v_add_f32_e32 v12, v22, v12
	v_mul_f32_e32 v22, 0xbeb58ec6, v0
	v_fmamk_f32 v52, v4, 0x3f6f5d39, v22
	v_fmac_f32_e32 v22, 0xbf6f5d39, v4
	s_delay_alu instid0(VALU_DEP_2) | instskip(SKIP_1) | instid1(VALU_DEP_3)
	v_add_f32_e32 v52, v29, v52
	v_add_f32_e32 v26, v51, v26
	v_dual_fmamk_f32 v51, v19, 0xbeedf032, v55 :: v_dual_add_f32 v22, v29, v22
	s_delay_alu instid0(VALU_DEP_3) | instskip(SKIP_1) | instid1(VALU_DEP_2)
	v_dual_fmac_f32 v55, 0x3eedf032, v19 :: v_dual_add_f32 v50, v52, v54
	v_mul_f32_e32 v52, 0x3df6dbef, v20
	v_dual_mul_f32 v54, 0x3df6dbef, v0 :: v_dual_add_f32 v49, v51, v50
	s_delay_alu instid0(VALU_DEP_2) | instskip(SKIP_3) | instid1(VALU_DEP_3)
	v_fmamk_f32 v50, v21, 0x3f7e222b, v52
	v_mul_f32_e32 v51, 0xbf788fa5, v24
	v_fmac_f32_e32 v53, 0x3f29c268, v10
	v_fmac_f32_e32 v52, 0xbf7e222b, v21
	v_dual_add_f32 v48, v50, v49 :: v_dual_fmamk_f32 v49, v25, 0xbe750f2a, v51
	s_delay_alu instid0(VALU_DEP_3)
	v_add_f32_e32 v22, v22, v53
	v_mul_f32_e32 v50, 0x3f116cb1, v46
	v_fmamk_f32 v53, v4, 0x3f7e222b, v54
	v_fmac_f32_e32 v54, 0xbf7e222b, v4
	v_add_f32_e32 v48, v49, v48
	v_add_f32_e32 v22, v55, v22
	v_fmamk_f32 v49, v47, 0xbf52af12, v50
	v_mul_f32_e32 v55, 0xbeb58ec6, v11
	v_dual_fmac_f32 v51, 0x3e750f2a, v25 :: v_dual_add_f32 v54, v29, v54
	s_delay_alu instid0(VALU_DEP_4) | instskip(NEXT) | instid1(VALU_DEP_4)
	v_add_f32_e32 v22, v52, v22
	v_add_f32_e32 v48, v49, v48
	;; [unrolled: 1-line block ×3, first 2 shown]
	v_fmamk_f32 v53, v10, 0x3e750f2a, v56
	v_fmamk_f32 v52, v19, 0xbf6f5d39, v55
	v_fmac_f32_e32 v56, 0xbe750f2a, v10
	v_fmac_f32_e32 v55, 0x3f6f5d39, v19
	s_delay_alu instid0(VALU_DEP_4) | instskip(SKIP_1) | instid1(VALU_DEP_2)
	v_add_f32_e32 v49, v49, v53
	v_dual_mul_f32 v53, 0x3f62ad3f, v20 :: v_dual_add_f32 v22, v51, v22
	v_add_f32_e32 v49, v52, v49
	s_delay_alu instid0(VALU_DEP_2)
	v_dual_fmamk_f32 v51, v21, 0xbeedf032, v53 :: v_dual_add_f32 v52, v54, v56
	v_fmac_f32_e32 v53, 0x3eedf032, v21
	v_mul_f32_e32 v54, 0x3f116cb1, v0
	v_mul_f32_e32 v56, 0xbeb58ec6, v9
	;; [unrolled: 1-line block ×3, first 2 shown]
	v_add_f32_e32 v49, v51, v49
	v_add_f32_e32 v51, v55, v52
	s_delay_alu instid0(VALU_DEP_1) | instskip(SKIP_1) | instid1(VALU_DEP_1)
	v_dual_mul_f32 v0, 0x3f62ad3f, v0 :: v_dual_add_f32 v51, v53, v51
	v_fmamk_f32 v55, v4, 0x3f52af12, v54
	v_dual_fmac_f32 v54, 0xbf52af12, v4 :: v_dual_add_f32 v53, v29, v55
	v_fmac_f32_e32 v50, 0x3f52af12, v47
	s_delay_alu instid0(VALU_DEP_2) | instskip(SKIP_1) | instid1(VALU_DEP_1)
	v_dual_fmamk_f32 v55, v10, 0x3f6f5d39, v56 :: v_dual_add_f32 v54, v29, v54
	v_fmac_f32_e32 v56, 0xbf6f5d39, v10
	v_dual_mul_f32 v57, 0xbf3f9e67, v46 :: v_dual_add_f32 v54, v54, v56
	s_delay_alu instid0(VALU_DEP_1) | instskip(SKIP_4) | instid1(VALU_DEP_4)
	v_dual_add_f32 v22, v50, v22 :: v_dual_fmamk_f32 v59, v47, 0x3f29c268, v57
	v_mul_f32_e32 v50, 0x3f116cb1, v24
	v_fmac_f32_e32 v57, 0xbf29c268, v47
	v_fmamk_f32 v56, v47, 0xbeedf032, v60
	v_fmac_f32_e32 v60, 0x3eedf032, v47
	v_fmamk_f32 v52, v25, 0x3f52af12, v50
	v_fmac_f32_e32 v50, 0xbf52af12, v25
	s_delay_alu instid0(VALU_DEP_1) | instskip(NEXT) | instid1(VALU_DEP_1)
	v_dual_add_f32 v49, v52, v49 :: v_dual_add_f32 v50, v50, v51
	v_add_f32_e32 v50, v57, v50
	v_add_f32_e32 v57, v29, v37
	;; [unrolled: 1-line block ×3, first 2 shown]
	v_mul_f32_e32 v55, 0xbf3f9e67, v20
	s_delay_alu instid0(VALU_DEP_3) | instskip(SKIP_2) | instid1(VALU_DEP_4)
	v_dual_mul_f32 v20, 0xbeb58ec6, v20 :: v_dual_add_f32 v57, v57, v35
	v_fmamk_f32 v53, v19, 0x3e750f2a, v58
	v_fmac_f32_e32 v58, 0xbe750f2a, v19
	v_fmamk_f32 v52, v21, 0xbf29c268, v55
	s_delay_alu instid0(VALU_DEP_2) | instskip(SKIP_1) | instid1(VALU_DEP_2)
	v_dual_add_f32 v51, v53, v51 :: v_dual_add_f32 v54, v58, v54
	v_mul_f32_e32 v53, 0x3df6dbef, v24
	v_dual_mul_f32 v24, 0xbf3f9e67, v24 :: v_dual_add_f32 v51, v52, v51
	s_delay_alu instid0(VALU_DEP_2) | instskip(NEXT) | instid1(VALU_DEP_1)
	v_fmamk_f32 v52, v25, 0xbf7e222b, v53
	v_dual_add_f32 v51, v52, v51 :: v_dual_add_f32 v52, v57, v17
	v_fmamk_f32 v57, v4, 0x3eedf032, v0
	v_fmac_f32_e32 v0, 0xbeedf032, v4
	s_delay_alu instid0(VALU_DEP_3) | instskip(NEXT) | instid1(VALU_DEP_2)
	v_dual_add_f32 v52, v52, v31 :: v_dual_fmac_f32 v55, 0x3f29c268, v21
	v_add_f32_e32 v0, v29, v0
	s_delay_alu instid0(VALU_DEP_2) | instskip(NEXT) | instid1(VALU_DEP_3)
	v_dual_add_f32 v29, v29, v57 :: v_dual_add_f32 v52, v52, v15
	v_add_f32_e32 v4, v55, v54
	v_fmamk_f32 v54, v10, 0x3f52af12, v9
	v_fmac_f32_e32 v9, 0xbf52af12, v10
	v_mul_f32_e32 v11, 0x3df6dbef, v11
	v_dual_add_f32 v10, v52, v7 :: v_dual_fmac_f32 v53, 0x3f7e222b, v25
	s_delay_alu instid0(VALU_DEP_3) | instskip(NEXT) | instid1(VALU_DEP_3)
	v_add_f32_e32 v0, v0, v9
	v_fmamk_f32 v52, v19, 0x3f7e222b, v11
	v_fmac_f32_e32 v11, 0xbf7e222b, v19
	v_fmamk_f32 v19, v21, 0x3f6f5d39, v20
	v_fmac_f32_e32 v20, 0xbf6f5d39, v21
	v_dual_mul_f32 v21, 0xbf788fa5, v46 :: v_dual_add_f32 v4, v53, v4
	s_delay_alu instid0(VALU_DEP_4) | instskip(SKIP_2) | instid1(VALU_DEP_3)
	v_dual_add_f32 v0, v11, v0 :: v_dual_fmamk_f32 v11, v25, 0x3f29c268, v24
	v_dual_add_f32 v9, v10, v13 :: v_dual_add_f32 v10, v29, v54
	v_fmac_f32_e32 v24, 0xbf29c268, v25
	v_add_f32_e32 v0, v20, v0
	s_delay_alu instid0(VALU_DEP_3) | instskip(NEXT) | instid1(VALU_DEP_4)
	v_dual_add_f32 v4, v60, v4 :: v_dual_add_f32 v9, v27, v9
	v_add_f32_e32 v10, v52, v10
	v_add_f32_e32 v20, v59, v49
	s_delay_alu instid0(VALU_DEP_2) | instskip(SKIP_2) | instid1(VALU_DEP_3)
	v_dual_add_f32 v9, v33, v9 :: v_dual_add_f32 v10, v19, v10
	v_fmamk_f32 v19, v47, 0x3e750f2a, v21
	v_dual_fmac_f32 v21, 0xbe750f2a, v47 :: v_dual_add_f32 v0, v24, v0
	v_add_f32_e32 v9, v39, v9
	s_delay_alu instid0(VALU_DEP_4) | instskip(SKIP_1) | instid1(VALU_DEP_3)
	v_add_f32_e32 v10, v11, v10
	v_mad_u32_u24 v11, v3, 52, 0
	v_dual_add_f32 v0, v21, v0 :: v_dual_add_f32 v9, v43, v9
	s_delay_alu instid0(VALU_DEP_3) | instskip(NEXT) | instid1(VALU_DEP_2)
	v_dual_add_f32 v21, v56, v51 :: v_dual_add_f32 v10, v19, v10
	v_add_f32_e32 v9, v41, v9
	ds_store_2addr_b32 v11, v9, v0 offset1:1
	ds_store_2addr_b32 v11, v4, v50 offset0:2 offset1:3
	ds_store_2addr_b32 v11, v22, v45 offset0:4 offset1:5
	;; [unrolled: 1-line block ×5, first 2 shown]
	ds_store_b32 v11, v10 offset:48
.LBB0_13:
	s_wait_alu 0xfffe
	s_or_b32 exec_lo, exec_lo, s1
	v_lshl_add_u32 v0, v3, 2, 0
	global_wb scope:SCOPE_SE
	s_wait_loadcnt_dscnt 0x0
	s_barrier_signal -1
	s_barrier_wait -1
	global_inv scope:SCOPE_SE
	v_add_nc_u32_e32 v4, 0x900, v0
	v_add_nc_u32_e32 v29, 0x1200, v0
	;; [unrolled: 1-line block ×5, first 2 shown]
	ds_load_2addr_b32 v[9:10], v0 offset1:156
	ds_load_2addr_b32 v[25:26], v4 offset0:48 offset1:204
	ds_load_2addr_b32 v[23:24], v29 offset0:96 offset1:252
	;; [unrolled: 1-line block ×5, first 2 shown]
	s_add_nc_u64 s[2:3], s[14:15], s[2:3]
	global_wb scope:SCOPE_SE
	s_wait_dscnt 0x0
	s_barrier_signal -1
	s_barrier_wait -1
	global_inv scope:SCOPE_SE
	s_and_saveexec_b32 s1, s0
	s_cbranch_execz .LBB0_15
; %bb.14:
	v_dual_add_f32 v48, v30, v38 :: v_dual_sub_f32 v37, v37, v41
	v_dual_add_f32 v38, v38, v42 :: v_dual_add_f32 v41, v36, v44
	s_delay_alu instid0(VALU_DEP_2) | instskip(NEXT) | instid1(VALU_DEP_3)
	v_dual_sub_f32 v35, v35, v43 :: v_dual_add_f32 v36, v48, v36
	v_mul_f32_e32 v43, 0xbeedf032, v37
	v_dual_mul_f32 v50, 0xbf6f5d39, v37 :: v_dual_sub_f32 v17, v17, v39
	s_delay_alu instid0(VALU_DEP_3) | instskip(SKIP_1) | instid1(VALU_DEP_3)
	v_dual_mul_f32 v53, 0xbf6f5d39, v35 :: v_dual_add_f32 v36, v36, v18
	v_mul_f32_e32 v49, 0xbf7e222b, v37
	v_fma_f32 v59, 0xbeb58ec6, v38, -v50
	v_fma_f32 v56, 0x3f62ad3f, v38, -v43
	v_mul_f32_e32 v54, 0xbe750f2a, v35
	v_dual_add_f32 v36, v36, v32 :: v_dual_mul_f32 v51, 0xbf29c268, v37
	s_delay_alu instid0(VALU_DEP_4) | instskip(SKIP_2) | instid1(VALU_DEP_4)
	v_add_f32_e32 v59, v30, v59
	v_fma_f32 v58, 0x3df6dbef, v38, -v49
	v_dual_fmac_f32 v49, 0x3df6dbef, v38 :: v_dual_add_f32 v56, v30, v56
	v_dual_add_f32 v36, v36, v16 :: v_dual_mul_f32 v55, 0x3f29c268, v35
	v_fma_f32 v60, 0xbf3f9e67, v38, -v51
	v_fmac_f32_e32 v50, 0xbeb58ec6, v38
	v_fma_f32 v62, 0xbeb58ec6, v41, -v53
	s_delay_alu instid0(VALU_DEP_4) | instskip(SKIP_3) | instid1(VALU_DEP_4)
	v_dual_fmac_f32 v53, 0xbeb58ec6, v41 :: v_dual_add_f32 v36, v36, v8
	v_add_f32_e32 v58, v30, v58
	v_add_f32_e32 v49, v30, v49
	v_dual_add_f32 v50, v30, v50 :: v_dual_sub_f32 v31, v31, v33
	v_add_f32_e32 v36, v36, v14
	v_fmac_f32_e32 v43, 0x3f62ad3f, v38
	v_dual_sub_f32 v15, v15, v27 :: v_dual_add_f32 v16, v16, v28
	s_delay_alu instid0(VALU_DEP_3) | instskip(NEXT) | instid1(VALU_DEP_3)
	v_dual_mul_f32 v27, 0x3f52af12, v31 :: v_dual_add_f32 v36, v28, v36
	v_dual_mul_f32 v48, 0xbf52af12, v37 :: v_dual_add_f32 v43, v30, v43
	v_mul_f32_e32 v37, 0xbe750f2a, v37
	s_delay_alu instid0(VALU_DEP_3) | instskip(NEXT) | instid1(VALU_DEP_3)
	v_dual_fmac_f32 v51, 0xbf3f9e67, v38 :: v_dual_add_f32 v36, v34, v36
	v_fma_f32 v57, 0x3f116cb1, v38, -v48
	v_mul_f32_e32 v52, 0xbf52af12, v35
	v_fmac_f32_e32 v48, 0x3f116cb1, v38
	v_fma_f32 v61, 0xbf788fa5, v38, -v37
	v_fmac_f32_e32 v37, 0xbf788fa5, v38
	v_add_f32_e32 v57, v30, v57
	v_fma_f32 v38, 0x3f116cb1, v41, -v52
	v_add_f32_e32 v48, v30, v48
	v_add_f32_e32 v36, v40, v36
	v_dual_fmac_f32 v52, 0x3f116cb1, v41 :: v_dual_add_f32 v51, v30, v51
	v_dual_add_f32 v60, v30, v60 :: v_dual_sub_f32 v7, v7, v13
	s_delay_alu instid0(VALU_DEP_3)
	v_add_f32_e32 v36, v44, v36
	v_add_f32_e32 v44, v30, v61
	v_dual_add_f32 v30, v30, v37 :: v_dual_add_f32 v37, v56, v38
	v_add_f32_e32 v18, v18, v40
	v_dual_add_f32 v48, v48, v53 :: v_dual_mul_f32 v53, 0x3f7e222b, v35
	v_add_f32_e32 v38, v43, v52
	v_fma_f32 v43, 0xbf788fa5, v41, -v54
	v_fmac_f32_e32 v54, 0xbf788fa5, v41
	v_fma_f32 v52, 0xbf3f9e67, v41, -v55
	v_fmac_f32_e32 v55, 0xbf3f9e67, v41
	v_fma_f32 v39, 0x3df6dbef, v41, -v53
	v_mul_f32_e32 v35, 0x3eedf032, v35
	v_fmac_f32_e32 v53, 0x3df6dbef, v41
	v_dual_add_f32 v49, v49, v54 :: v_dual_add_f32 v36, v42, v36
	s_delay_alu instid0(VALU_DEP_4)
	v_dual_add_f32 v39, v60, v39 :: v_dual_add_f32 v42, v57, v62
	v_add_f32_e32 v52, v59, v52
	v_add_f32_e32 v50, v50, v55
	v_fma_f32 v54, 0x3f62ad3f, v41, -v35
	v_fmac_f32_e32 v35, 0x3f62ad3f, v41
	v_add_f32_e32 v41, v51, v53
	v_mul_f32_e32 v53, 0xbe750f2a, v17
	v_mul_f32_e32 v40, 0xbf7e222b, v17
	v_add_f32_e32 v44, v44, v54
	v_add_f32_e32 v30, v30, v35
	v_dual_add_f32 v43, v58, v43 :: v_dual_add_f32 v8, v8, v14
	s_delay_alu instid0(VALU_DEP_4) | instskip(NEXT) | instid1(VALU_DEP_1)
	v_fma_f32 v51, 0x3df6dbef, v18, -v40
	v_add_f32_e32 v35, v51, v37
	v_fma_f32 v37, 0xbf788fa5, v18, -v53
	v_mul_f32_e32 v51, 0x3f6f5d39, v17
	v_fmac_f32_e32 v53, 0xbf788fa5, v18
	s_delay_alu instid0(VALU_DEP_3) | instskip(NEXT) | instid1(VALU_DEP_3)
	v_add_f32_e32 v37, v37, v42
	v_fma_f32 v42, 0xbeb58ec6, v18, -v51
	v_fmac_f32_e32 v51, 0xbeb58ec6, v18
	v_fmac_f32_e32 v40, 0x3df6dbef, v18
	v_add_f32_e32 v48, v53, v48
	s_delay_alu instid0(VALU_DEP_4) | instskip(NEXT) | instid1(VALU_DEP_3)
	v_dual_add_f32 v42, v42, v43 :: v_dual_mul_f32 v43, 0xbf52af12, v17
	v_dual_add_f32 v49, v51, v49 :: v_dual_add_f32 v38, v40, v38
	s_delay_alu instid0(VALU_DEP_2) | instskip(SKIP_3) | instid1(VALU_DEP_4)
	v_fma_f32 v33, 0x3f116cb1, v18, -v43
	v_mul_f32_e32 v40, 0x3eedf032, v17
	v_mul_f32_e32 v17, 0xbf29c268, v17
	v_fmac_f32_e32 v43, 0x3f116cb1, v18
	v_add_f32_e32 v33, v33, v39
	s_delay_alu instid0(VALU_DEP_4) | instskip(NEXT) | instid1(VALU_DEP_4)
	v_fma_f32 v53, 0x3f62ad3f, v18, -v40
	v_fma_f32 v39, 0xbf3f9e67, v18, -v17
	v_add_f32_e32 v32, v32, v34
	v_fmac_f32_e32 v17, 0xbf3f9e67, v18
	v_mul_f32_e32 v34, 0xbf6f5d39, v31
	s_delay_alu instid0(VALU_DEP_4) | instskip(SKIP_1) | instid1(VALU_DEP_4)
	v_dual_fmac_f32 v40, 0x3f62ad3f, v18 :: v_dual_add_f32 v39, v39, v44
	v_add_f32_e32 v51, v53, v52
	v_add_f32_e32 v17, v17, v30
	s_delay_alu instid0(VALU_DEP_4) | instskip(NEXT) | instid1(VALU_DEP_1)
	v_fma_f32 v18, 0xbeb58ec6, v32, -v34
	v_dual_add_f32 v18, v18, v35 :: v_dual_add_f32 v41, v43, v41
	v_dual_add_f32 v40, v40, v50 :: v_dual_mul_f32 v43, 0x3f29c268, v31
	v_mul_f32_e32 v35, 0x3eedf032, v31
	s_delay_alu instid0(VALU_DEP_2) | instskip(NEXT) | instid1(VALU_DEP_1)
	v_fma_f32 v30, 0xbf3f9e67, v32, -v43
	v_add_f32_e32 v30, v30, v37
	s_delay_alu instid0(VALU_DEP_3) | instskip(NEXT) | instid1(VALU_DEP_1)
	v_fma_f32 v37, 0x3f62ad3f, v32, -v35
	v_dual_fmac_f32 v34, 0xbeb58ec6, v32 :: v_dual_add_f32 v37, v37, v42
	s_delay_alu instid0(VALU_DEP_1) | instskip(SKIP_3) | instid1(VALU_DEP_3)
	v_add_f32_e32 v34, v34, v38
	v_mul_f32_e32 v38, 0xbf7e222b, v31
	v_fmac_f32_e32 v35, 0x3f62ad3f, v32
	v_mul_f32_e32 v42, 0x3e750f2a, v31
	v_fma_f32 v44, 0x3df6dbef, v32, -v38
	v_fmac_f32_e32 v43, 0xbf3f9e67, v32
	s_delay_alu instid0(VALU_DEP_3) | instskip(NEXT) | instid1(VALU_DEP_2)
	v_fma_f32 v31, 0xbf788fa5, v32, -v42
	v_dual_add_f32 v44, v44, v51 :: v_dual_add_f32 v43, v43, v48
	s_delay_alu instid0(VALU_DEP_2) | instskip(NEXT) | instid1(VALU_DEP_1)
	v_dual_fmac_f32 v38, 0x3df6dbef, v32 :: v_dual_add_f32 v31, v31, v33
	v_add_f32_e32 v38, v38, v40
	v_fma_f32 v40, 0x3f116cb1, v32, -v27
	v_fmac_f32_e32 v42, 0xbf788fa5, v32
	v_fmac_f32_e32 v27, 0x3f116cb1, v32
	s_delay_alu instid0(VALU_DEP_3) | instskip(NEXT) | instid1(VALU_DEP_3)
	v_add_f32_e32 v39, v40, v39
	v_dual_mul_f32 v28, 0xbf29c268, v15 :: v_dual_add_f32 v33, v42, v41
	s_delay_alu instid0(VALU_DEP_1) | instskip(SKIP_1) | instid1(VALU_DEP_2)
	v_fma_f32 v32, 0xbf3f9e67, v16, -v28
	v_fmac_f32_e32 v28, 0xbf3f9e67, v16
	v_add_f32_e32 v18, v32, v18
	s_delay_alu instid0(VALU_DEP_2) | instskip(SKIP_2) | instid1(VALU_DEP_2)
	v_add_f32_e32 v28, v28, v34
	v_dual_mul_f32 v40, 0x3f7e222b, v15 :: v_dual_add_f32 v17, v27, v17
	v_dual_add_f32 v35, v35, v49 :: v_dual_mul_f32 v34, 0x3e750f2a, v15
	v_fma_f32 v32, 0x3df6dbef, v16, -v40
	s_delay_alu instid0(VALU_DEP_1) | instskip(NEXT) | instid1(VALU_DEP_1)
	v_dual_mul_f32 v27, 0xbf52af12, v15 :: v_dual_add_f32 v30, v32, v30
	v_fma_f32 v41, 0x3f116cb1, v16, -v27
	v_fmac_f32_e32 v27, 0x3f116cb1, v16
	s_delay_alu instid0(VALU_DEP_2) | instskip(NEXT) | instid1(VALU_DEP_2)
	v_dual_fmac_f32 v40, 0x3df6dbef, v16 :: v_dual_add_f32 v37, v41, v37
	v_add_f32_e32 v27, v27, v35
	s_delay_alu instid0(VALU_DEP_2) | instskip(SKIP_1) | instid1(VALU_DEP_1)
	v_add_f32_e32 v32, v40, v43
	v_fma_f32 v40, 0xbf788fa5, v16, -v34
	v_dual_mul_f32 v35, 0x3eedf032, v15 :: v_dual_add_f32 v40, v40, v44
	s_delay_alu instid0(VALU_DEP_1) | instskip(SKIP_2) | instid1(VALU_DEP_3)
	v_fma_f32 v13, 0x3f62ad3f, v16, -v35
	v_fmac_f32_e32 v34, 0xbf788fa5, v16
	v_fmac_f32_e32 v35, 0x3f62ad3f, v16
	v_add_f32_e32 v13, v13, v31
	s_delay_alu instid0(VALU_DEP_3) | instskip(NEXT) | instid1(VALU_DEP_1)
	v_dual_mul_f32 v15, 0xbf6f5d39, v15 :: v_dual_add_f32 v34, v34, v38
	v_fma_f32 v38, 0xbeb58ec6, v16, -v15
	s_delay_alu instid0(VALU_DEP_4) | instskip(NEXT) | instid1(VALU_DEP_1)
	v_dual_fmac_f32 v15, 0xbeb58ec6, v16 :: v_dual_add_f32 v16, v35, v33
	v_dual_mul_f32 v14, 0xbe750f2a, v7 :: v_dual_add_f32 v15, v15, v17
	s_delay_alu instid0(VALU_DEP_3) | instskip(NEXT) | instid1(VALU_DEP_2)
	v_add_f32_e32 v31, v38, v39
	v_fma_f32 v33, 0xbf788fa5, v8, -v14
	v_fmac_f32_e32 v14, 0xbf788fa5, v8
	v_mul_f32_e32 v35, 0x3eedf032, v7
	s_delay_alu instid0(VALU_DEP_3) | instskip(NEXT) | instid1(VALU_DEP_3)
	v_dual_mul_f32 v17, 0xbf29c268, v7 :: v_dual_add_f32 v18, v33, v18
	v_add_f32_e32 v14, v14, v28
	s_delay_alu instid0(VALU_DEP_3) | instskip(SKIP_1) | instid1(VALU_DEP_4)
	v_fma_f32 v33, 0x3f62ad3f, v8, -v35
	v_fmac_f32_e32 v35, 0x3f62ad3f, v8
	v_fma_f32 v38, 0xbf3f9e67, v8, -v17
	v_mul_f32_e32 v28, 0x3f52af12, v7
	s_delay_alu instid0(VALU_DEP_4) | instskip(NEXT) | instid1(VALU_DEP_3)
	v_add_f32_e32 v30, v33, v30
	v_dual_add_f32 v32, v35, v32 :: v_dual_add_f32 v33, v38, v37
	v_mul_f32_e32 v37, 0xbf6f5d39, v7
	s_delay_alu instid0(VALU_DEP_4) | instskip(SKIP_2) | instid1(VALU_DEP_2)
	v_fma_f32 v35, 0x3f116cb1, v8, -v28
	v_fmac_f32_e32 v28, 0x3f116cb1, v8
	v_fmac_f32_e32 v17, 0xbf3f9e67, v8
	v_dual_mul_f32 v7, 0x3f7e222b, v7 :: v_dual_add_f32 v28, v28, v34
	v_fma_f32 v34, 0xbeb58ec6, v8, -v37
	s_delay_alu instid0(VALU_DEP_3) | instskip(SKIP_1) | instid1(VALU_DEP_4)
	v_add_f32_e32 v17, v17, v27
	v_add_f32_e32 v27, v35, v40
	v_fma_f32 v35, 0x3df6dbef, v8, -v7
	v_fmac_f32_e32 v7, 0x3df6dbef, v8
	v_fmac_f32_e32 v37, 0xbeb58ec6, v8
	v_mad_u32_u24 v8, v3, 48, v0
	v_add_f32_e32 v13, v34, v13
	v_add_f32_e32 v31, v35, v31
	;; [unrolled: 1-line block ×4, first 2 shown]
	ds_store_2addr_b32 v8, v36, v18 offset1:1
	ds_store_2addr_b32 v8, v30, v33 offset0:2 offset1:3
	ds_store_2addr_b32 v8, v27, v13 offset0:4 offset1:5
	;; [unrolled: 1-line block ×5, first 2 shown]
	ds_store_b32 v8, v14 offset:48
.LBB0_15:
	s_wait_alu 0xfffe
	s_or_b32 exec_lo, exec_lo, s1
	v_and_b32_e32 v7, 0xff, v3
	v_add_nc_u32_e32 v28, 0x9c, v3
	v_add_nc_u32_e32 v30, 0x1d4, v3
	;; [unrolled: 1-line block ×3, first 2 shown]
	s_load_b64 s[0:1], s[2:3], 0x0
	v_mul_lo_u16 v8, 0x4f, v7
	v_and_b32_e32 v50, 0xffff, v28
	v_and_b32_e32 v14, 0xffff, v30
	;; [unrolled: 1-line block ×3, first 2 shown]
	global_wb scope:SCOPE_SE
	s_wait_dscnt 0x0
	v_lshrrev_b16 v52, 10, v8
	v_mul_u32_u24_e32 v8, 0x4ec5, v50
	s_wait_kmcnt 0x0
	s_barrier_signal -1
	v_mul_u32_u24_e32 v15, 0x4ec5, v51
	s_barrier_wait -1
	v_mul_lo_u16 v13, v52, 13
	v_lshrrev_b32_e32 v54, 18, v8
	global_inv scope:SCOPE_SE
	v_lshrrev_b32_e32 v55, 18, v15
	v_mul_lo_u16 v43, 0xa5, v7
	v_sub_nc_u16 v8, v3, v13
	v_mul_u32_u24_e32 v13, 0x4ec5, v14
	v_mul_lo_u16 v14, v54, 13
	v_mul_u32_u24_e32 v62, 0xa41b, v51
	v_lshrrev_b16 v61, 8, v43
	v_and_b32_e32 v56, 0xff, v8
	v_lshrrev_b32_e32 v57, 18, v13
	v_sub_nc_u16 v13, v28, v14
	v_mul_lo_u16 v8, v55, 13
	v_lshrrev_b32_e32 v62, 16, v62
	v_lshlrev_b32_e32 v14, 4, v56
	v_mul_lo_u16 v17, v57, 13
	v_and_b32_e32 v58, 0xffff, v13
	v_sub_nc_u16 v8, v27, v8
	v_sub_nc_u16 v67, v27, v62
	global_load_b128 v[13:16], v14, s[8:9]
	v_sub_nc_u16 v17, v30, v17
	v_sub_nc_u16 v63, v3, v61
	v_and_b32_e32 v59, 0xffff, v8
	v_lshlrev_b32_e32 v8, 4, v58
	v_lshrrev_b16 v67, 1, v67
	v_and_b32_e32 v60, 0xffff, v17
	v_lshrrev_b16 v63, 1, v63
	v_mul_u32_u24_e32 v54, 0x9c, v54
	global_load_b128 v[31:34], v8, s[8:9]
	v_lshlrev_b32_e32 v17, 4, v59
	v_lshlrev_b32_e32 v8, 4, v60
	v_add_nc_u16 v62, v67, v62
	v_mul_u32_u24_e32 v57, 0x9c, v57
	s_clause 0x1
	global_load_b128 v[35:38], v17, s[8:9]
	global_load_b128 v[39:42], v8, s[8:9]
	ds_load_2addr_b32 v[7:8], v0 offset1:156
	ds_load_2addr_b32 v[17:18], v4 offset0:48 offset1:204
	ds_load_2addr_b32 v[43:44], v29 offset0:96 offset1:252
	;; [unrolled: 1-line block ×3, first 2 shown]
	v_and_b32_e32 v64, 0xffff, v52
	v_and_b32_e32 v63, 0x7f, v63
	v_lshrrev_b16 v62, 5, v62
	v_lshlrev_b32_e32 v58, 2, v58
	v_mul_u32_u24_e32 v55, 0x9c, v55
	s_delay_alu instid0(VALU_DEP_4) | instskip(NEXT) | instid1(VALU_DEP_3)
	v_add_nc_u16 v61, v63, v61
	v_add3_u32 v54, 0, v54, v58
	s_delay_alu instid0(VALU_DEP_2) | instskip(NEXT) | instid1(VALU_DEP_1)
	v_lshrrev_b16 v61, 5, v61
	v_and_b32_e32 v61, 7, v61
	s_wait_loadcnt_dscnt 0x301
	v_mul_f32_e32 v67, v43, v16
	v_mul_f32_e32 v16, v23, v16
	s_delay_alu instid0(VALU_DEP_2)
	v_fmac_f32_e32 v67, v23, v15
	v_mul_u32_u24_e32 v53, 0xa41b, v50
	ds_load_2addr_b32 v[50:51], v46 offset0:40 offset1:196
	s_wait_loadcnt 0x2
	v_mul_f32_e32 v23, v24, v34
	v_lshrrev_b32_e32 v65, 16, v53
	ds_load_2addr_b32 v[52:53], v47 offset0:24 offset1:180
	global_wb scope:SCOPE_SE
	s_wait_loadcnt_dscnt 0x0
	s_barrier_signal -1
	s_barrier_wait -1
	v_sub_nc_u16 v66, v28, v65
	global_inv scope:SCOPE_SE
	v_lshrrev_b16 v66, 1, v66
	s_delay_alu instid0(VALU_DEP_1) | instskip(SKIP_1) | instid1(VALU_DEP_2)
	v_add_nc_u16 v63, v66, v65
	v_mul_lo_u16 v66, v62, 39
	v_lshrrev_b16 v63, 5, v63
	s_delay_alu instid0(VALU_DEP_2) | instskip(SKIP_2) | instid1(VALU_DEP_2)
	v_sub_nc_u16 v58, v27, v66
	v_mul_f32_e32 v66, v17, v14
	v_mul_f32_e32 v14, v25, v14
	v_fmac_f32_e32 v66, v25, v13
	s_delay_alu instid0(VALU_DEP_2)
	v_fma_f32 v13, v17, v13, -v14
	v_fma_f32 v14, v43, v15, -v16
	v_mul_f32_e32 v15, v18, v32
	v_mul_f32_e32 v16, v26, v32
	;; [unrolled: 1-line block ×5, first 2 shown]
	v_mul_lo_u16 v65, v61, 39
	v_mul_f32_e32 v43, v53, v42
	v_dual_mul_f32 v17, v44, v34 :: v_dual_lshlrev_b32 v56, 2, v56
	v_dual_mul_f32 v34, v52, v38 :: v_dual_lshlrev_b32 v59, 2, v59
	s_delay_alu instid0(VALU_DEP_4) | instskip(NEXT) | instid1(VALU_DEP_4)
	v_sub_nc_u16 v65, v3, v65
	v_fmac_f32_e32 v43, v20, v41
	v_mul_u32_u24_e32 v64, 0x9c, v64
	v_mul_f32_e32 v38, v51, v40
	v_fma_f32 v16, v18, v31, -v16
	v_and_b32_e32 v65, 0xff, v65
	v_fma_f32 v18, v44, v33, -v23
	v_add_f32_e32 v23, v9, v66
	v_add3_u32 v56, 0, v64, v56
	v_mul_lo_u16 v64, v63, 39
	v_fmac_f32_e32 v15, v26, v31
	v_fmac_f32_e32 v17, v24, v33
	v_dual_fmac_f32 v25, v21, v35 :: v_dual_lshlrev_b32 v60, 2, v60
	s_delay_alu instid0(VALU_DEP_4)
	v_sub_nc_u16 v64, v28, v64
	v_fma_f32 v21, v50, v35, -v32
	v_dual_fmac_f32 v34, v19, v37 :: v_dual_add_f32 v33, v8, v16
	v_fmac_f32_e32 v38, v22, v39
	v_add_f32_e32 v24, v66, v67
	v_dual_sub_f32 v26, v13, v14 :: v_dual_add_f32 v31, v7, v13
	v_dual_add_f32 v13, v13, v14 :: v_dual_and_b32 v64, 0xffff, v64
	v_add_f32_e32 v23, v23, v67
	v_add3_u32 v57, 0, v57, v60
	v_mul_u32_u24_e32 v60, 3, v65
	v_mul_f32_e32 v40, v22, v40
	v_dual_mul_f32 v42, v20, v42 :: v_dual_add_f32 v35, v11, v25
	v_fma_f32 v19, v52, v37, -v36
	v_fma_f32 v7, -0.5, v13, v7
	v_add_f32_e32 v36, v25, v34
	v_sub_f32_e32 v25, v25, v34
	v_fma_f32 v9, -0.5, v24, v9
	v_add3_u32 v55, 0, v55, v59
	v_dual_add_f32 v13, v10, v15 :: v_dual_and_b32 v58, 0xffff, v58
	v_mul_u32_u24_e32 v59, 3, v64
	v_lshlrev_b32_e32 v60, 3, v60
	v_fma_f32 v20, v53, v41, -v42
	v_dual_add_f32 v14, v31, v14 :: v_dual_sub_f32 v37, v21, v19
	v_dual_add_f32 v24, v15, v17 :: v_dual_sub_f32 v31, v16, v18
	v_sub_f32_e32 v15, v15, v17
	v_fma_f32 v22, v51, v39, -v40
	v_add_f32_e32 v39, v48, v21
	v_add_f32_e32 v21, v21, v19
	;; [unrolled: 1-line block ×3, first 2 shown]
	v_sub_f32_e32 v32, v66, v67
	v_fmamk_f32 v50, v26, 0xbf5db3d7, v9
	v_fmac_f32_e32 v9, 0x3f5db3d7, v26
	v_add_f32_e32 v16, v16, v18
	v_dual_add_f32 v40, v12, v38 :: v_dual_add_f32 v13, v13, v17
	v_dual_sub_f32 v42, v22, v20 :: v_dual_add_f32 v17, v33, v18
	v_dual_add_f32 v44, v49, v22 :: v_dual_fmamk_f32 v51, v32, 0x3f5db3d7, v7
	v_fmac_f32_e32 v7, 0xbf5db3d7, v32
	v_fma_f32 v11, -0.5, v36, v11
	v_fmac_f32_e32 v8, -0.5, v16
	v_add_f32_e32 v22, v22, v20
	v_fmac_f32_e32 v10, -0.5, v24
	v_add_f32_e32 v16, v35, v34
	v_fma_f32 v35, -0.5, v21, v48
	v_add_f32_e32 v18, v39, v19
	v_dual_fmamk_f32 v39, v15, 0x3f5db3d7, v8 :: v_dual_sub_f32 v38, v38, v43
	v_dual_fmac_f32 v49, -0.5, v22 :: v_dual_fmac_f32 v12, -0.5, v41
	v_add_f32_e32 v19, v40, v43
	v_dual_fmac_f32 v8, 0xbf5db3d7, v15 :: v_dual_fmamk_f32 v15, v37, 0xbf5db3d7, v11
	s_delay_alu instid0(VALU_DEP_3)
	v_fmamk_f32 v40, v38, 0x3f5db3d7, v49
	v_dual_fmac_f32 v49, 0xbf5db3d7, v38 :: v_dual_add_f32 v36, v44, v20
	v_fmamk_f32 v21, v42, 0xbf5db3d7, v12
	v_fmamk_f32 v20, v31, 0xbf5db3d7, v10
	v_dual_fmac_f32 v10, 0x3f5db3d7, v31 :: v_dual_fmac_f32 v11, 0x3f5db3d7, v37
	v_dual_fmamk_f32 v37, v25, 0x3f5db3d7, v35 :: v_dual_fmac_f32 v12, 0x3f5db3d7, v42
	ds_store_2addr_b32 v56, v23, v50 offset1:13
	ds_store_b32 v56, v9 offset:104
	ds_store_2addr_b32 v54, v13, v20 offset1:13
	ds_store_b32 v54, v10 offset:104
	;; [unrolled: 2-line block ×4, first 2 shown]
	v_lshlrev_b32_e32 v15, 3, v59
	v_fmac_f32_e32 v35, 0xbf5db3d7, v25
	global_wb scope:SCOPE_SE
	s_wait_dscnt 0x0
	s_barrier_signal -1
	s_barrier_wait -1
	global_inv scope:SCOPE_SE
	ds_load_2addr_b32 v[19:20], v0 offset1:156
	ds_load_2addr_b32 v[21:22], v45 offset0:56 offset1:212
	ds_load_2addr_b32 v[23:24], v46 offset0:40 offset1:196
	;; [unrolled: 1-line block ×5, first 2 shown]
	global_wb scope:SCOPE_SE
	s_wait_dscnt 0x0
	s_barrier_signal -1
	s_barrier_wait -1
	global_inv scope:SCOPE_SE
	ds_store_2addr_b32 v56, v14, v51 offset1:13
	ds_store_b32 v56, v7 offset:104
	ds_store_2addr_b32 v54, v17, v39 offset1:13
	ds_store_b32 v54, v8 offset:104
	;; [unrolled: 2-line block ×4, first 2 shown]
	global_wb scope:SCOPE_SE
	s_wait_dscnt 0x0
	s_barrier_signal -1
	s_barrier_wait -1
	global_inv scope:SCOPE_SE
	s_clause 0x2
	global_load_b128 v[7:10], v60, s[8:9] offset:208
	global_load_b64 v[35:36], v60, s[8:9] offset:224
	global_load_b128 v[11:14], v15, s[8:9] offset:208
	v_mul_u32_u24_e32 v16, 3, v58
	v_mul_u32_u24_e32 v54, 5, v3
	v_lshlrev_b32_e32 v59, 2, v64
	s_delay_alu instid0(VALU_DEP_3)
	v_lshlrev_b32_e32 v39, 3, v16
	s_clause 0x2
	global_load_b64 v[37:38], v15, s[8:9] offset:224
	global_load_b128 v[15:18], v39, s[8:9] offset:208
	global_load_b64 v[39:40], v39, s[8:9] offset:224
	v_and_b32_e32 v50, 0xffff, v61
	ds_load_2addr_b32 v[41:42], v45 offset0:56 offset1:212
	v_and_b32_e32 v43, 0xffff, v63
	ds_load_2addr_b32 v[52:53], v47 offset0:24 offset1:180
	v_lshlrev_b32_e32 v61, 3, v54
	v_mul_u32_u24_e32 v57, 0x270, v50
	ds_load_2addr_b32 v[50:51], v4 offset0:48 offset1:204
	s_wait_loadcnt_dscnt 0x300
	v_dual_mul_f32 v63, v50, v12 :: v_dual_and_b32 v48, 0xffff, v62
	s_delay_alu instid0(VALU_DEP_1)
	v_mul_u32_u24_e32 v56, 0x270, v48
	ds_load_2addr_b32 v[48:49], v29 offset0:96 offset1:252
	v_mul_f32_e32 v12, v31, v12
	v_fmac_f32_e32 v63, v31, v11
	s_wait_loadcnt 0x1
	v_mul_f32_e32 v66, v51, v16
	s_wait_loadcnt 0x0
	v_mul_f32_e32 v68, v53, v40
	v_mul_f32_e32 v40, v34, v40
	s_delay_alu instid0(VALU_DEP_3) | instskip(NEXT) | instid1(VALU_DEP_3)
	v_fmac_f32_e32 v66, v32, v15
	v_fmac_f32_e32 v68, v34, v39
	s_wait_dscnt 0x0
	v_dual_mul_f32 v62, v49, v36 :: v_dual_mul_f32 v67, v48, v18
	v_mul_f32_e32 v18, v25, v18
	s_delay_alu instid0(VALU_DEP_2) | instskip(SKIP_1) | instid1(VALU_DEP_4)
	v_fmac_f32_e32 v62, v26, v35
	v_dual_mul_f32 v65, v52, v38 :: v_dual_lshlrev_b32 v60, 2, v65
	v_dual_fmac_f32 v67, v25, v17 :: v_dual_lshlrev_b32 v58, 2, v58
	s_delay_alu instid0(VALU_DEP_2) | instskip(NEXT) | instid1(VALU_DEP_3)
	v_add3_u32 v57, 0, v57, v60
	v_fmac_f32_e32 v65, v33, v37
	s_delay_alu instid0(VALU_DEP_3)
	v_add3_u32 v56, 0, v56, v58
	v_mul_f32_e32 v58, v42, v8
	v_mul_u32_u24_e32 v55, 0x270, v43
	ds_load_2addr_b32 v[43:44], v46 offset0:40 offset1:196
	v_mul_f32_e32 v8, v22, v8
	v_fmac_f32_e32 v58, v22, v7
	v_add3_u32 v59, 0, v55, v59
	ds_load_2addr_b32 v[54:55], v0 offset1:156
	v_fma_f32 v7, v42, v7, -v8
	v_sub_f32_e32 v22, v63, v65
	global_wb scope:SCOPE_SE
	s_wait_dscnt 0x0
	s_barrier_signal -1
	s_barrier_wait -1
	global_inv scope:SCOPE_SE
	v_mul_f32_e32 v60, v43, v10
	v_mul_f32_e32 v10, v23, v10
	s_delay_alu instid0(VALU_DEP_2) | instskip(NEXT) | instid1(VALU_DEP_2)
	v_fmac_f32_e32 v60, v23, v9
	v_fma_f32 v8, v43, v9, -v10
	v_dual_sub_f32 v23, v21, v67 :: v_dual_mul_f32 v64, v44, v14
	v_fma_f32 v10, v50, v11, -v12
	s_delay_alu instid0(VALU_DEP_3) | instskip(NEXT) | instid1(VALU_DEP_3)
	v_sub_f32_e32 v8, v54, v8
	v_fma_f32 v21, v21, 2.0, -v23
	s_delay_alu instid0(VALU_DEP_4) | instskip(NEXT) | instid1(VALU_DEP_3)
	v_fmac_f32_e32 v64, v24, v13
	v_fma_f32 v25, v54, 2.0, -v8
	v_mul_f32_e32 v14, v24, v14
	v_sub_f32_e32 v24, v66, v68
	s_delay_alu instid0(VALU_DEP_2) | instskip(SKIP_3) | instid1(VALU_DEP_4)
	v_fma_f32 v11, v44, v13, -v14
	v_mul_f32_e32 v36, v26, v36
	v_fma_f32 v14, v48, v17, -v18
	v_sub_f32_e32 v17, v58, v62
	v_dual_mul_f32 v38, v33, v38 :: v_dual_sub_f32 v11, v55, v11
	v_mul_f32_e32 v16, v32, v16
	v_fma_f32 v9, v49, v35, -v36
	s_delay_alu instid0(VALU_DEP_4) | instskip(NEXT) | instid1(VALU_DEP_4)
	v_sub_f32_e32 v31, v8, v17
	v_fma_f32 v12, v52, v37, -v38
	v_sub_f32_e32 v33, v11, v22
	v_fma_f32 v13, v51, v15, -v16
	v_fma_f32 v15, v53, v39, -v40
	v_sub_f32_e32 v9, v7, v9
	v_sub_f32_e32 v16, v19, v60
	;; [unrolled: 1-line block ×6, first 2 shown]
	v_fma_f32 v7, v7, 2.0, -v9
	v_fma_f32 v19, v19, 2.0, -v16
	;; [unrolled: 1-line block ×10, first 2 shown]
	v_sub_f32_e32 v7, v25, v7
	v_add_f32_e32 v9, v16, v9
	v_dual_sub_f32 v35, v14, v24 :: v_dual_sub_f32 v24, v19, v26
	v_add_f32_e32 v12, v18, v12
	v_sub_f32_e32 v26, v17, v32
	v_dual_sub_f32 v10, v20, v10 :: v_dual_add_f32 v15, v23, v15
	v_dual_sub_f32 v32, v21, v34 :: v_dual_sub_f32 v13, v22, v13
	v_fma_f32 v8, v8, 2.0, -v31
	v_fma_f32 v34, v25, 2.0, -v7
	;; [unrolled: 1-line block ×12, first 2 shown]
	ds_store_2addr_b32 v57, v24, v9 offset0:78 offset1:117
	ds_store_2addr_b32 v57, v19, v16 offset1:39
	ds_store_2addr_b32 v59, v17, v18 offset1:39
	ds_store_2addr_b32 v59, v26, v12 offset0:78 offset1:117
	ds_store_2addr_b32 v56, v20, v23 offset1:39
	ds_store_2addr_b32 v56, v32, v15 offset0:78 offset1:117
	global_wb scope:SCOPE_SE
	s_wait_dscnt 0x0
	s_barrier_signal -1
	s_barrier_wait -1
	global_inv scope:SCOPE_SE
	ds_load_2addr_b32 v[15:16], v0 offset1:156
	ds_load_2addr_b32 v[17:18], v45 offset0:56 offset1:212
	ds_load_2addr_b32 v[19:20], v4 offset0:48 offset1:204
	;; [unrolled: 1-line block ×5, first 2 shown]
	global_wb scope:SCOPE_SE
	s_wait_dscnt 0x0
	s_barrier_signal -1
	s_barrier_wait -1
	global_inv scope:SCOPE_SE
	ds_store_2addr_b32 v57, v34, v8 offset1:39
	ds_store_2addr_b32 v57, v7, v31 offset0:78 offset1:117
	ds_store_2addr_b32 v59, v36, v11 offset1:39
	ds_store_2addr_b32 v59, v10, v33 offset0:78 offset1:117
	ds_store_2addr_b32 v56, v37, v14 offset1:39
	ds_store_2addr_b32 v56, v13, v35 offset0:78 offset1:117
	global_wb scope:SCOPE_SE
	s_wait_dscnt 0x0
	s_barrier_signal -1
	s_barrier_wait -1
	global_inv scope:SCOPE_SE
	s_clause 0x2
	global_load_b128 v[7:10], v61, s[8:9] offset:1144
	global_load_b128 v[11:14], v61, s[8:9] offset:1160
	global_load_b64 v[31:32], v61, s[8:9] offset:1176
	ds_load_2addr_b32 v[33:34], v45 offset0:56 offset1:212
	ds_load_2addr_b32 v[35:36], v4 offset0:48 offset1:204
	;; [unrolled: 1-line block ×5, first 2 shown]
	ds_load_2addr_b32 v[43:44], v0 offset1:156
	global_wb scope:SCOPE_SE
	s_wait_loadcnt_dscnt 0x0
	s_barrier_signal -1
	s_barrier_wait -1
	global_inv scope:SCOPE_SE
	v_mul_f32_e32 v59, v36, v10
	v_dual_mul_f32 v61, v40, v14 :: v_dual_mul_f32 v48, v33, v8
	v_mul_f32_e32 v49, v17, v8
	v_mul_f32_e32 v52, v37, v12
	;; [unrolled: 1-line block ×3, first 2 shown]
	v_dual_mul_f32 v8, v18, v8 :: v_dual_fmac_f32 v59, v20, v9
	v_fmac_f32_e32 v61, v24, v13
	v_mul_f32_e32 v53, v21, v12
	v_mul_f32_e32 v57, v25, v32
	;; [unrolled: 1-line block ×3, first 2 shown]
	v_fmac_f32_e32 v48, v17, v7
	v_fma_f32 v17, v33, v7, -v49
	v_fmac_f32_e32 v52, v21, v11
	v_fmac_f32_e32 v58, v18, v7
	v_fma_f32 v7, v34, v7, -v8
	v_mul_f32_e32 v56, v41, v32
	v_add_f32_e32 v34, v59, v61
	v_dual_mul_f32 v51, v19, v10 :: v_dual_mul_f32 v62, v42, v32
	v_mul_f32_e32 v32, v26, v32
	v_fma_f32 v21, v37, v11, -v53
	v_fmac_f32_e32 v56, v25, v31
	v_fma_f32 v25, v41, v31, -v57
	v_fmac_f32_e32 v60, v22, v11
	v_dual_add_f32 v33, v16, v59 :: v_dual_fmac_f32 v16, -0.5, v34
	v_mul_f32_e32 v12, v22, v12
	v_add_f32_e32 v22, v48, v52
	v_mul_f32_e32 v50, v35, v10
	v_mul_f32_e32 v10, v20, v10
	;; [unrolled: 1-line block ×3, first 2 shown]
	v_fmac_f32_e32 v62, v26, v31
	v_sub_f32_e32 v26, v21, v25
	v_fmac_f32_e32 v50, v19, v9
	v_fma_f32 v19, v35, v9, -v51
	v_fma_f32 v8, v36, v9, -v10
	;; [unrolled: 1-line block ×4, first 2 shown]
	v_add_f32_e32 v31, v17, v21
	v_add_f32_e32 v21, v21, v25
	v_mul_f32_e32 v55, v23, v14
	v_dual_mul_f32 v14, v24, v14 :: v_dual_add_f32 v41, v7, v9
	s_delay_alu instid0(VALU_DEP_3)
	v_dual_add_f32 v12, v15, v50 :: v_dual_fmac_f32 v17, -0.5, v21
	v_add_f32_e32 v21, v33, v61
	v_fmac_f32_e32 v54, v23, v13
	v_fma_f32 v23, v39, v13, -v55
	v_fma_f32 v10, v40, v13, -v14
	v_sub_f32_e32 v40, v9, v11
	v_add_f32_e32 v9, v9, v11
	s_delay_alu instid0(VALU_DEP_4) | instskip(SKIP_1) | instid1(VALU_DEP_3)
	v_dual_add_f32 v13, v50, v54 :: v_dual_sub_f32 v14, v19, v23
	v_add_f32_e32 v39, v60, v62
	v_dual_sub_f32 v42, v60, v62 :: v_dual_fmac_f32 v7, -0.5, v9
	s_delay_alu instid0(VALU_DEP_3) | instskip(SKIP_2) | instid1(VALU_DEP_3)
	v_fma_f32 v13, -0.5, v13, v15
	v_sub_f32_e32 v35, v8, v10
	v_dual_add_f32 v12, v12, v54 :: v_dual_sub_f32 v37, v59, v61
	v_dual_fmamk_f32 v9, v14, 0xbf5db3d7, v13 :: v_dual_sub_f32 v32, v52, v56
	v_dual_fmac_f32 v13, 0x3f5db3d7, v14 :: v_dual_add_f32 v18, v43, v19
	s_delay_alu instid0(VALU_DEP_2) | instskip(SKIP_1) | instid1(VALU_DEP_3)
	v_dual_add_f32 v19, v19, v23 :: v_dual_fmamk_f32 v14, v32, 0x3f5db3d7, v17
	v_fmac_f32_e32 v17, 0xbf5db3d7, v32
	v_add_f32_e32 v15, v18, v23
	s_delay_alu instid0(VALU_DEP_3) | instskip(NEXT) | instid1(VALU_DEP_3)
	v_fma_f32 v18, -0.5, v19, v43
	v_mul_f32_e32 v34, 0xbf5db3d7, v17
	v_dual_mul_f32 v17, -0.5, v17 :: v_dual_add_f32 v24, v52, v56
	v_dual_add_f32 v19, v22, v56 :: v_dual_add_f32 v22, v31, v25
	v_fmamk_f32 v31, v42, 0x3f5db3d7, v7
	s_delay_alu instid0(VALU_DEP_3) | instskip(SKIP_3) | instid1(VALU_DEP_4)
	v_dual_fmac_f32 v7, 0xbf5db3d7, v42 :: v_dual_fmac_f32 v48, -0.5, v24
	v_add_f32_e32 v24, v41, v11
	v_sub_f32_e32 v20, v50, v54
	v_add_f32_e32 v25, v15, v22
	v_fmamk_f32 v11, v26, 0xbf5db3d7, v48
	v_fmac_f32_e32 v48, 0x3f5db3d7, v26
	s_delay_alu instid0(VALU_DEP_1)
	v_fmac_f32_e32 v34, -0.5, v48
	v_add_f32_e32 v36, v44, v8
	v_fmac_f32_e32 v17, 0x3f5db3d7, v48
	v_add_f32_e32 v38, v58, v60
	v_fmac_f32_e32 v58, -0.5, v39
	v_add_f32_e32 v8, v8, v10
	v_add_f32_e32 v23, v36, v10
	v_fmamk_f32 v10, v20, 0x3f5db3d7, v18
	v_fmac_f32_e32 v18, 0xbf5db3d7, v20
	v_add_f32_e32 v20, v12, v19
	v_dual_sub_f32 v12, v12, v19 :: v_dual_sub_f32 v19, v15, v22
	v_fmamk_f32 v15, v35, 0xbf5db3d7, v16
	v_dual_fmac_f32 v16, 0x3f5db3d7, v35 :: v_dual_add_f32 v33, v23, v24
	v_mul_f32_e32 v35, 0xbf5db3d7, v31
	v_mul_f32_e32 v31, 0.5, v31
	v_dual_sub_f32 v23, v23, v24 :: v_dual_fmamk_f32 v26, v40, 0xbf5db3d7, v58
	v_fmac_f32_e32 v44, -0.5, v8
	v_fmac_f32_e32 v58, 0x3f5db3d7, v40
	v_mul_f32_e32 v36, 0xbf5db3d7, v7
	s_delay_alu instid0(VALU_DEP_4) | instskip(SKIP_2) | instid1(VALU_DEP_4)
	v_fmac_f32_e32 v31, 0x3f5db3d7, v26
	v_add_f32_e32 v8, v38, v62
	v_fmac_f32_e32 v35, 0.5, v26
	v_fmac_f32_e32 v36, -0.5, v58
	v_fmamk_f32 v22, v37, 0x3f5db3d7, v44
	v_fmac_f32_e32 v44, 0xbf5db3d7, v37
	v_add_f32_e32 v32, v21, v8
	v_dual_sub_f32 v8, v21, v8 :: v_dual_mul_f32 v21, 0xbf5db3d7, v14
	v_dual_mul_f32 v14, 0.5, v14 :: v_dual_mul_f32 v37, -0.5, v7
	s_delay_alu instid0(VALU_DEP_2) | instskip(NEXT) | instid1(VALU_DEP_2)
	v_dual_add_f32 v38, v18, v17 :: v_dual_fmac_f32 v21, 0.5, v11
	v_dual_fmac_f32 v14, 0x3f5db3d7, v11 :: v_dual_add_f32 v11, v13, v34
	v_dual_sub_f32 v13, v13, v34 :: v_dual_sub_f32 v34, v18, v17
	s_delay_alu instid0(VALU_DEP_3) | instskip(NEXT) | instid1(VALU_DEP_3)
	v_add_f32_e32 v7, v9, v21
	v_dual_sub_f32 v9, v9, v21 :: v_dual_add_f32 v26, v10, v14
	v_dual_sub_f32 v21, v10, v14 :: v_dual_add_f32 v10, v15, v35
	;; [unrolled: 1-line block ×3, first 2 shown]
	v_sub_f32_e32 v16, v16, v36
	ds_store_2addr_b32 v0, v20, v7 offset1:156
	ds_store_2addr_b32 v45, v11, v12 offset0:56 offset1:212
	ds_store_2addr_b32 v4, v9, v13 offset0:48 offset1:204
	;; [unrolled: 1-line block ×5, first 2 shown]
	global_wb scope:SCOPE_SE
	s_wait_dscnt 0x0
	s_barrier_signal -1
	s_barrier_wait -1
	global_inv scope:SCOPE_SE
	ds_load_2addr_b32 v[7:8], v0 offset1:156
	ds_load_2addr_b32 v[13:14], v46 offset0:40 offset1:196
	ds_load_2addr_b32 v[9:10], v45 offset0:56 offset1:212
	;; [unrolled: 1-line block ×5, first 2 shown]
	v_dual_fmac_f32 v37, 0x3f5db3d7, v58 :: v_dual_add_f32 v20, v22, v31
	v_sub_f32_e32 v22, v22, v31
	global_wb scope:SCOPE_SE
	s_wait_dscnt 0x0
	s_barrier_signal -1
	v_add_f32_e32 v32, v44, v37
	v_sub_f32_e32 v24, v44, v37
	s_barrier_wait -1
	global_inv scope:SCOPE_SE
	ds_store_2addr_b32 v0, v25, v26 offset1:156
	ds_store_2addr_b32 v45, v38, v19 offset0:56 offset1:212
	ds_store_2addr_b32 v4, v21, v34 offset0:48 offset1:204
	;; [unrolled: 1-line block ×5, first 2 shown]
	global_wb scope:SCOPE_SE
	s_wait_dscnt 0x0
	s_barrier_signal -1
	s_barrier_wait -1
	global_inv scope:SCOPE_SE
	s_and_saveexec_b32 s2, vcc_lo
	s_cbranch_execz .LBB0_17
; %bb.16:
	v_dual_mov_b32 v4, 0 :: v_dual_add_nc_u32 v41, 0x900, v0
	v_add_nc_u32_e32 v56, 0x444, v3
	v_mul_lo_u32 v29, s1, v5
	v_mul_lo_u32 v6, s0, v6
	s_delay_alu instid0(VALU_DEP_4) | instskip(SKIP_3) | instid1(VALU_DEP_4)
	v_lshlrev_b64_e32 v[19:20], 3, v[3:4]
	v_mad_co_u64_u32 v[4:5], null, s0, v5, 0
	v_mad_co_u64_u32 v[39:40], null, s16, v28, 0
	v_add_nc_u32_e32 v45, 0x400, v0
	v_add_co_u32 v19, vcc_lo, s8, v19
	s_wait_alu 0xfffd
	v_add_co_ci_u32_e32 v20, vcc_lo, s9, v20, vcc_lo
	v_add_nc_u32_e32 v49, 0xe00, v0
	v_mad_co_u64_u32 v[37:38], null, s16, v3, 0
	s_clause 0x5
	global_load_b64 v[21:22], v[19:20], off offset:13624
	global_load_b64 v[23:24], v[19:20], off offset:12376
	;; [unrolled: 1-line block ×6, first 2 shown]
	v_add_nc_u32_e32 v43, 0x1800, v0
	ds_load_2addr_b32 v[35:36], v0 offset1:156
	v_add_nc_u32_e32 v59, 0x30c, v3
	v_mad_co_u64_u32 v[53:54], null, s16, v56, 0
	v_add_nc_u32_e32 v47, 0x1200, v0
	v_lshlrev_b64_e32 v[0:1], 3, v[1:2]
	v_lshrrev_b32_e32 v2, 3, v27
	v_lshrrev_b32_e32 v62, 3, v59
	v_add3_u32 v5, v5, v6, v29
	v_mov_b32_e32 v6, v40
	v_add_nc_u32_e32 v58, 0x270, v3
	v_mul_hi_u32 v60, 0x8c08c09, v2
	v_mul_hi_u32 v40, 0x8c08c09, v62
	v_lshrrev_b32_e32 v57, 3, v30
	v_mad_co_u64_u32 v[28:29], null, s17, v28, v[6:7]
	v_add_nc_u32_e32 v55, 0x3a8, v3
	v_lshrrev_b32_e32 v61, 3, v58
	v_mov_b32_e32 v2, v38
	v_lshrrev_b32_e32 v29, 2, v60
	v_mul_hi_u32 v57, 0x8c08c09, v57
	v_mov_b32_e32 v6, v54
	v_mul_hi_u32 v38, 0x8c08c09, v61
	v_mad_co_u64_u32 v[2:3], null, s17, v3, v[2:3]
	v_mad_u32_u24 v61, 0x3a8, v29, v27
	v_lshrrev_b32_e32 v29, 2, v40
	v_mov_b32_e32 v40, v28
	v_mad_co_u64_u32 v[51:52], null, s16, v55, 0
	v_lshlrev_b64_e32 v[3:4], 3, v[4:5]
	s_delay_alu instid0(VALU_DEP_2) | instskip(SKIP_1) | instid1(VALU_DEP_2)
	v_dual_mov_b32 v5, v52 :: v_dual_add_nc_u32 v64, 0x3a8, v61
	v_lshrrev_b32_e32 v52, 2, v57
	v_mad_co_u64_u32 v[54:55], null, s17, v55, v[5:6]
	v_mad_co_u64_u32 v[5:6], null, s17, v56, v[6:7]
	s_delay_alu instid0(VALU_DEP_3) | instskip(SKIP_4) | instid1(VALU_DEP_3)
	v_mad_u32_u24 v63, 0x3a8, v52, v30
	v_add_co_u32 v30, vcc_lo, s6, v3
	s_wait_alu 0xfffd
	v_add_co_ci_u32_e32 v4, vcc_lo, s7, v4, vcc_lo
	v_lshrrev_b32_e32 v6, 2, v38
	v_add_co_u32 v68, vcc_lo, v30, v0
	v_mov_b32_e32 v38, v2
	v_mad_co_u64_u32 v[2:3], null, s16, v61, 0
	v_add_nc_u32_e32 v65, 0x3a8, v63
	s_wait_alu 0xfffd
	v_add_co_ci_u32_e32 v69, vcc_lo, v4, v1, vcc_lo
	v_mov_b32_e32 v52, v54
	v_mov_b32_e32 v54, v5
	v_mad_co_u64_u32 v[4:5], null, s16, v64, 0
	v_mad_co_u64_u32 v[27:28], null, s16, v63, 0
	v_mad_u32_u24 v67, 0x3a8, v29, v59
	v_lshlrev_b64_e32 v[0:1], 3, v[37:38]
	v_mad_co_u64_u32 v[37:38], null, s16, v65, 0
	v_mad_co_u64_u32 v[61:62], null, s17, v61, v[3:4]
	v_mov_b32_e32 v3, v5
	v_mad_u32_u24 v66, 0x3a8, v6, v58
	v_lshlrev_b64_e32 v[29:30], 3, v[39:40]
	v_dual_mov_b32 v6, v28 :: v_dual_add_nc_u32 v71, 0x3a8, v67
	v_add_co_u32 v0, vcc_lo, v68, v0
	s_delay_alu instid0(VALU_DEP_4) | instskip(NEXT) | instid1(VALU_DEP_3)
	v_mad_co_u64_u32 v[39:40], null, s16, v66, 0
	v_mad_co_u64_u32 v[5:6], null, s17, v63, v[6:7]
	;; [unrolled: 1-line block ×3, first 2 shown]
	s_wait_alu 0xfffd
	v_add_co_ci_u32_e32 v1, vcc_lo, v69, v1, vcc_lo
	v_mov_b32_e32 v6, v38
	v_add_nc_u32_e32 v70, 0x3a8, v66
	v_mad_co_u64_u32 v[55:56], null, s16, v67, 0
	v_add_co_u32 v29, vcc_lo, v68, v29
	v_mov_b32_e32 v28, v40
	v_mad_co_u64_u32 v[63:64], null, s17, v65, v[6:7]
	v_mad_co_u64_u32 v[59:60], null, s16, v71, 0
	s_delay_alu instid0(VALU_DEP_3)
	v_mad_co_u64_u32 v[64:65], null, s17, v66, v[28:29]
	v_dual_mov_b32 v28, v5 :: v_dual_mov_b32 v5, v62
	v_mad_co_u64_u32 v[57:58], null, s16, v70, 0
	ds_load_2addr_b32 v[41:42], v41 offset0:48 offset1:204
	ds_load_2addr_b32 v[43:44], v43 offset0:24 offset1:180
	;; [unrolled: 1-line block ×5, first 2 shown]
	v_dual_mov_b32 v38, v56 :: v_dual_mov_b32 v3, v61
	v_lshlrev_b64_e32 v[51:52], 3, v[51:52]
	v_lshlrev_b64_e32 v[53:54], 3, v[53:54]
	s_wait_alu 0xfffd
	v_add_co_ci_u32_e32 v30, vcc_lo, v69, v30, vcc_lo
	v_mov_b32_e32 v6, v58
	v_mad_co_u64_u32 v[65:66], null, s17, v67, v[38:39]
	v_mov_b32_e32 v38, v60
	v_add_co_u32 v51, vcc_lo, v68, v51
	s_delay_alu instid0(VALU_DEP_4) | instskip(NEXT) | instid1(VALU_DEP_3)
	v_mad_co_u64_u32 v[60:61], null, s17, v70, v[6:7]
	v_mad_co_u64_u32 v[66:67], null, s17, v71, v[38:39]
	v_mov_b32_e32 v38, v63
	v_lshlrev_b64_e32 v[2:3], 3, v[2:3]
	s_wait_alu 0xfffd
	v_add_co_ci_u32_e32 v52, vcc_lo, v69, v52, vcc_lo
	v_mov_b32_e32 v58, v60
	v_add_co_u32 v53, vcc_lo, v68, v53
	v_mov_b32_e32 v60, v66
	s_wait_alu 0xfffd
	v_add_co_ci_u32_e32 v54, vcc_lo, v69, v54, vcc_lo
	v_lshlrev_b64_e32 v[4:5], 3, v[4:5]
	v_add_co_u32 v2, vcc_lo, v68, v2
	s_wait_alu 0xfffd
	v_add_co_ci_u32_e32 v3, vcc_lo, v69, v3, vcc_lo
	v_lshlrev_b64_e32 v[57:58], 3, v[57:58]
	v_lshlrev_b64_e32 v[59:60], 3, v[59:60]
	s_wait_loadcnt 0x5
	v_mul_f32_e32 v6, v18, v22
	s_wait_loadcnt_dscnt 0x403
	v_dual_mul_f32 v22, v44, v22 :: v_dual_mul_f32 v61, v17, v24
	v_mul_f32_e32 v24, v43, v24
	s_wait_loadcnt 0x3
	v_mul_f32_e32 v62, v16, v26
	s_wait_loadcnt_dscnt 0x0
	v_mul_f32_e32 v66, v49, v20
	v_mul_f32_e32 v26, v48, v26
	v_fmac_f32_e32 v22, v18, v21
	v_fma_f32 v18, v43, v23, -v61
	v_fmac_f32_e32 v24, v17, v23
	v_fmac_f32_e32 v66, v13, v19
	v_mov_b32_e32 v40, v64
	v_mul_f32_e32 v64, v14, v34
	v_mul_f32_e32 v34, v50, v34
	v_fma_f32 v17, v48, v25, -v62
	v_dual_fmac_f32 v26, v16, v25 :: v_dual_mul_f32 v63, v15, v32
	v_mul_f32_e32 v32, v47, v32
	s_delay_alu instid0(VALU_DEP_4)
	v_fmac_f32_e32 v34, v14, v33
	v_mov_b32_e32 v56, v65
	v_mul_f32_e32 v65, v13, v20
	v_sub_f32_e32 v16, v41, v18
	v_sub_f32_e32 v18, v46, v17
	v_sub_f32_e32 v17, v10, v26
	v_lshlrev_b64_e32 v[27:28], 3, v[27:28]
	v_fmac_f32_e32 v32, v15, v31
	v_fma_f32 v23, v49, v19, -v65
	v_fma_f32 v6, v44, v21, -v6
	;; [unrolled: 1-line block ×3, first 2 shown]
	v_sub_f32_e32 v15, v11, v24
	v_add_co_u32 v27, vcc_lo, v68, v27
	v_sub_f32_e32 v19, v9, v32
	v_lshlrev_b64_e32 v[37:38], 3, v[37:38]
	s_wait_alu 0xfffd
	v_add_co_ci_u32_e32 v28, vcc_lo, v69, v28, vcc_lo
	v_add_co_u32 v4, vcc_lo, v68, v4
	v_sub_f32_e32 v24, v35, v23
	v_sub_f32_e32 v23, v7, v66
	v_lshlrev_b64_e32 v[39:40], 3, v[39:40]
	s_wait_alu 0xfffd
	v_add_co_ci_u32_e32 v5, vcc_lo, v69, v5, vcc_lo
	v_add_co_u32 v37, vcc_lo, v68, v37
	v_sub_f32_e32 v13, v12, v22
	v_sub_f32_e32 v22, v36, v21
	;; [unrolled: 1-line block ×3, first 2 shown]
	v_lshlrev_b64_e32 v[55:56], 3, v[55:56]
	s_wait_alu 0xfffd
	v_add_co_ci_u32_e32 v38, vcc_lo, v69, v38, vcc_lo
	v_add_co_u32 v39, vcc_lo, v68, v39
	v_fma_f32 v20, v47, v31, -v63
	s_wait_alu 0xfffd
	v_add_co_ci_u32_e32 v40, vcc_lo, v69, v40, vcc_lo
	v_add_co_u32 v55, vcc_lo, v68, v55
	s_wait_alu 0xfffd
	v_add_co_ci_u32_e32 v56, vcc_lo, v69, v56, vcc_lo
	v_sub_f32_e32 v20, v45, v20
	v_add_co_u32 v57, vcc_lo, v68, v57
	v_sub_f32_e32 v14, v42, v6
	v_fma_f32 v34, v35, 2.0, -v24
	v_fma_f32 v33, v7, 2.0, -v23
	s_wait_alu 0xfffd
	v_add_co_ci_u32_e32 v58, vcc_lo, v69, v58, vcc_lo
	v_fma_f32 v7, v36, 2.0, -v22
	v_fma_f32 v6, v8, 2.0, -v21
	v_add_co_u32 v59, vcc_lo, v68, v59
	v_fma_f32 v31, v10, 2.0, -v17
	v_fma_f32 v10, v45, 2.0, -v20
	;; [unrolled: 1-line block ×3, first 2 shown]
	s_wait_alu 0xfffd
	v_add_co_ci_u32_e32 v60, vcc_lo, v69, v60, vcc_lo
	v_fma_f32 v26, v42, 2.0, -v14
	v_fma_f32 v25, v12, 2.0, -v13
	;; [unrolled: 1-line block ×5, first 2 shown]
	s_clause 0xb
	global_store_b64 v[0:1], v[33:34], off
	global_store_b64 v[51:52], v[23:24], off
	;; [unrolled: 1-line block ×12, first 2 shown]
.LBB0_17:
	s_nop 0
	s_sendmsg sendmsg(MSG_DEALLOC_VGPRS)
	s_endpgm
	.section	.rodata,"a",@progbits
	.p2align	6, 0x0
	.amdhsa_kernel fft_rtc_back_len1872_factors_13_3_4_6_2_wgs_156_tpt_156_halfLds_sp_op_CI_CI_sbrr_dirReg
		.amdhsa_group_segment_fixed_size 0
		.amdhsa_private_segment_fixed_size 0
		.amdhsa_kernarg_size 104
		.amdhsa_user_sgpr_count 2
		.amdhsa_user_sgpr_dispatch_ptr 0
		.amdhsa_user_sgpr_queue_ptr 0
		.amdhsa_user_sgpr_kernarg_segment_ptr 1
		.amdhsa_user_sgpr_dispatch_id 0
		.amdhsa_user_sgpr_private_segment_size 0
		.amdhsa_wavefront_size32 1
		.amdhsa_uses_dynamic_stack 0
		.amdhsa_enable_private_segment 0
		.amdhsa_system_sgpr_workgroup_id_x 1
		.amdhsa_system_sgpr_workgroup_id_y 0
		.amdhsa_system_sgpr_workgroup_id_z 0
		.amdhsa_system_sgpr_workgroup_info 0
		.amdhsa_system_vgpr_workitem_id 0
		.amdhsa_next_free_vgpr 72
		.amdhsa_next_free_sgpr 43
		.amdhsa_reserve_vcc 1
		.amdhsa_float_round_mode_32 0
		.amdhsa_float_round_mode_16_64 0
		.amdhsa_float_denorm_mode_32 3
		.amdhsa_float_denorm_mode_16_64 3
		.amdhsa_fp16_overflow 0
		.amdhsa_workgroup_processor_mode 1
		.amdhsa_memory_ordered 1
		.amdhsa_forward_progress 0
		.amdhsa_round_robin_scheduling 0
		.amdhsa_exception_fp_ieee_invalid_op 0
		.amdhsa_exception_fp_denorm_src 0
		.amdhsa_exception_fp_ieee_div_zero 0
		.amdhsa_exception_fp_ieee_overflow 0
		.amdhsa_exception_fp_ieee_underflow 0
		.amdhsa_exception_fp_ieee_inexact 0
		.amdhsa_exception_int_div_zero 0
	.end_amdhsa_kernel
	.text
.Lfunc_end0:
	.size	fft_rtc_back_len1872_factors_13_3_4_6_2_wgs_156_tpt_156_halfLds_sp_op_CI_CI_sbrr_dirReg, .Lfunc_end0-fft_rtc_back_len1872_factors_13_3_4_6_2_wgs_156_tpt_156_halfLds_sp_op_CI_CI_sbrr_dirReg
                                        ; -- End function
	.section	.AMDGPU.csdata,"",@progbits
; Kernel info:
; codeLenInByte = 10732
; NumSgprs: 45
; NumVgprs: 72
; ScratchSize: 0
; MemoryBound: 0
; FloatMode: 240
; IeeeMode: 1
; LDSByteSize: 0 bytes/workgroup (compile time only)
; SGPRBlocks: 5
; VGPRBlocks: 8
; NumSGPRsForWavesPerEU: 45
; NumVGPRsForWavesPerEU: 72
; Occupancy: 15
; WaveLimiterHint : 1
; COMPUTE_PGM_RSRC2:SCRATCH_EN: 0
; COMPUTE_PGM_RSRC2:USER_SGPR: 2
; COMPUTE_PGM_RSRC2:TRAP_HANDLER: 0
; COMPUTE_PGM_RSRC2:TGID_X_EN: 1
; COMPUTE_PGM_RSRC2:TGID_Y_EN: 0
; COMPUTE_PGM_RSRC2:TGID_Z_EN: 0
; COMPUTE_PGM_RSRC2:TIDIG_COMP_CNT: 0
	.text
	.p2alignl 7, 3214868480
	.fill 96, 4, 3214868480
	.type	__hip_cuid_31a1dccf5d92e65e,@object ; @__hip_cuid_31a1dccf5d92e65e
	.section	.bss,"aw",@nobits
	.globl	__hip_cuid_31a1dccf5d92e65e
__hip_cuid_31a1dccf5d92e65e:
	.byte	0                               ; 0x0
	.size	__hip_cuid_31a1dccf5d92e65e, 1

	.ident	"AMD clang version 19.0.0git (https://github.com/RadeonOpenCompute/llvm-project roc-6.4.0 25133 c7fe45cf4b819c5991fe208aaa96edf142730f1d)"
	.section	".note.GNU-stack","",@progbits
	.addrsig
	.addrsig_sym __hip_cuid_31a1dccf5d92e65e
	.amdgpu_metadata
---
amdhsa.kernels:
  - .args:
      - .actual_access:  read_only
        .address_space:  global
        .offset:         0
        .size:           8
        .value_kind:     global_buffer
      - .offset:         8
        .size:           8
        .value_kind:     by_value
      - .actual_access:  read_only
        .address_space:  global
        .offset:         16
        .size:           8
        .value_kind:     global_buffer
      - .actual_access:  read_only
        .address_space:  global
        .offset:         24
        .size:           8
        .value_kind:     global_buffer
      - .actual_access:  read_only
        .address_space:  global
        .offset:         32
        .size:           8
        .value_kind:     global_buffer
      - .offset:         40
        .size:           8
        .value_kind:     by_value
      - .actual_access:  read_only
        .address_space:  global
        .offset:         48
        .size:           8
        .value_kind:     global_buffer
      - .actual_access:  read_only
        .address_space:  global
        .offset:         56
        .size:           8
        .value_kind:     global_buffer
      - .offset:         64
        .size:           4
        .value_kind:     by_value
      - .actual_access:  read_only
        .address_space:  global
        .offset:         72
        .size:           8
        .value_kind:     global_buffer
      - .actual_access:  read_only
        .address_space:  global
        .offset:         80
        .size:           8
        .value_kind:     global_buffer
      - .actual_access:  read_only
        .address_space:  global
        .offset:         88
        .size:           8
        .value_kind:     global_buffer
      - .actual_access:  write_only
        .address_space:  global
        .offset:         96
        .size:           8
        .value_kind:     global_buffer
    .group_segment_fixed_size: 0
    .kernarg_segment_align: 8
    .kernarg_segment_size: 104
    .language:       OpenCL C
    .language_version:
      - 2
      - 0
    .max_flat_workgroup_size: 156
    .name:           fft_rtc_back_len1872_factors_13_3_4_6_2_wgs_156_tpt_156_halfLds_sp_op_CI_CI_sbrr_dirReg
    .private_segment_fixed_size: 0
    .sgpr_count:     45
    .sgpr_spill_count: 0
    .symbol:         fft_rtc_back_len1872_factors_13_3_4_6_2_wgs_156_tpt_156_halfLds_sp_op_CI_CI_sbrr_dirReg.kd
    .uniform_work_group_size: 1
    .uses_dynamic_stack: false
    .vgpr_count:     72
    .vgpr_spill_count: 0
    .wavefront_size: 32
    .workgroup_processor_mode: 1
amdhsa.target:   amdgcn-amd-amdhsa--gfx1201
amdhsa.version:
  - 1
  - 2
...

	.end_amdgpu_metadata
